;; amdgpu-corpus repo=ROCm/rocFFT kind=compiled arch=gfx950 opt=O3
	.text
	.amdgcn_target "amdgcn-amd-amdhsa--gfx950"
	.amdhsa_code_object_version 6
	.protected	bluestein_single_back_len1078_dim1_sp_op_CI_CI ; -- Begin function bluestein_single_back_len1078_dim1_sp_op_CI_CI
	.globl	bluestein_single_back_len1078_dim1_sp_op_CI_CI
	.p2align	8
	.type	bluestein_single_back_len1078_dim1_sp_op_CI_CI,@function
bluestein_single_back_len1078_dim1_sp_op_CI_CI: ; @bluestein_single_back_len1078_dim1_sp_op_CI_CI
; %bb.0:
	s_load_dwordx4 s[16:19], s[0:1], 0x28
	v_mul_u32_u24_e32 v1, 0x354, v0
	v_lshrrev_b32_e32 v2, 16, v1
	v_mad_u64_u32 v[150:151], s[2:3], s2, 3, v[2:3]
	v_mov_b32_e32 v109, 0
	v_mov_b32_e32 v151, v109
	s_waitcnt lgkmcnt(0)
	v_cmp_gt_u64_e32 vcc, s[16:17], v[150:151]
	s_and_saveexec_b64 s[2:3], vcc
	s_cbranch_execz .LBB0_10
; %bb.1:
	s_load_dwordx4 s[12:15], s[0:1], 0x18
	s_load_dwordx4 s[8:11], s[0:1], 0x0
	v_mul_lo_u16_e32 v1, 0x4d, v2
	v_sub_u16_e32 v108, v0, v1
	v_mov_b32_e32 v4, s18
	s_waitcnt lgkmcnt(0)
	s_load_dwordx4 s[4:7], s[12:13], 0x0
	v_mov_b32_e32 v5, s19
	v_mov_b32_e32 v30, 0xfffff190
                                        ; implicit-def: $vgpr64
                                        ; implicit-def: $vgpr72
                                        ; implicit-def: $vgpr74
                                        ; implicit-def: $vgpr76
                                        ; implicit-def: $vgpr70
                                        ; implicit-def: $vgpr78
                                        ; implicit-def: $vgpr80
                                        ; implicit-def: $vgpr82
                                        ; implicit-def: $vgpr84
                                        ; implicit-def: $vgpr66
	s_waitcnt lgkmcnt(0)
	v_mad_u64_u32 v[0:1], s[2:3], s6, v150, 0
	v_mov_b32_e32 v2, v1
	v_mad_u64_u32 v[2:3], s[2:3], s7, v150, v[2:3]
	v_mov_b32_e32 v1, v2
	;; [unrolled: 2-line block ×4, first 2 shown]
	v_lshl_add_u64 v[0:1], v[0:1], 3, v[4:5]
	v_lshlrev_b32_e32 v4, 3, v108
	v_mov_b32_e32 v5, v109
	v_lshl_add_u64 v[0:1], v[2:3], 3, v[0:1]
	v_lshl_add_u64 v[6:7], s[8:9], 0, v[4:5]
	v_mov_b32_e32 v5, 0x10d8
	global_load_dwordx2 v[2:3], v[0:1], off
	v_mad_u64_u32 v[0:1], s[2:3], s4, v5, v[0:1]
	s_mul_i32 s6, s5, 0x10d8
	v_add_u32_e32 v1, s6, v1
	s_movk_i32 s2, 0x1000
	v_add_co_u32_e32 v6, vcc, s2, v6
	v_mad_u64_u32 v[8:9], s[2:3], s4, v30, v[0:1]
	s_mul_i32 s2, s5, 0xfffff190
	s_sub_i32 s5, s2, s4
	v_addc_co_u32_e32 v7, vcc, 0, v7, vcc
	v_add_u32_e32 v9, s5, v9
	global_load_dwordx2 v[60:61], v4, s[8:9]
	global_load_dwordx2 v[38:39], v[6:7], off offset:216
	v_cmp_gt_u16_e32 vcc, 21, v108
	global_load_dwordx2 v[0:1], v[0:1], off
	s_nop 0
	global_load_dwordx2 v[10:11], v[8:9], off
	global_load_dwordx2 v[58:59], v4, s[8:9] offset:616
	v_mad_u64_u32 v[8:9], s[2:3], s4, v5, v[8:9]
	v_add_u32_e32 v9, s6, v9
	v_mad_u64_u32 v[12:13], s[2:3], s4, v30, v[8:9]
	v_add_u32_e32 v13, s5, v13
	global_load_dwordx2 v[56:57], v[6:7], off offset:832
	global_load_dwordx2 v[14:15], v[8:9], off
	global_load_dwordx2 v[16:17], v[12:13], off
	global_load_dwordx2 v[54:55], v4, s[8:9] offset:1232
	v_mad_u64_u32 v[8:9], s[2:3], s4, v5, v[12:13]
	v_add_u32_e32 v9, s6, v9
	global_load_dwordx2 v[12:13], v[8:9], off
	global_load_dwordx2 v[52:53], v[6:7], off offset:1448
	v_mad_u64_u32 v[8:9], s[2:3], s4, v30, v[8:9]
	v_add_u32_e32 v9, s5, v9
	global_load_dwordx2 v[18:19], v[8:9], off
	global_load_dwordx2 v[50:51], v4, s[8:9] offset:1848
	v_mad_u64_u32 v[8:9], s[2:3], s4, v5, v[8:9]
	v_add_u32_e32 v9, s6, v9
	global_load_dwordx2 v[20:21], v[8:9], off
	global_load_dwordx2 v[48:49], v[6:7], off offset:2064
	v_mad_u64_u32 v[8:9], s[2:3], s4, v30, v[8:9]
	v_add_u32_e32 v9, s5, v9
	;; [unrolled: 8-line block ×4, first 2 shown]
	global_load_dwordx2 v[30:31], v[8:9], off
	global_load_dwordx2 v[36:37], v4, s[8:9] offset:3696
	v_mad_u64_u32 v[8:9], s[2:3], s4, v5, v[8:9]
	v_add_u32_e32 v9, s6, v9
	global_load_dwordx2 v[32:33], v[8:9], off
	global_load_dwordx2 v[34:35], v[6:7], off offset:3912
	s_load_dwordx2 s[2:3], s[0:1], 0x38
	s_load_dwordx4 s[4:7], s[14:15], 0x0
	s_mov_b32 s0, 0xaaaaaaab
	v_mul_hi_u32 v5, v150, s0
	v_lshrrev_b32_e32 v5, 1, v5
	v_lshl_add_u32 v5, v5, 1, v5
	v_sub_u32_e32 v5, v150, v5
	v_mul_u32_u24_e32 v5, 0x436, v5
	v_lshlrev_b32_e32 v112, 3, v5
	v_add_u32_e32 v151, v4, v112
	s_mov_b64 s[0:1], 0x4d
	s_waitcnt vmcnt(26)
	v_mul_f32_e32 v6, v3, v61
	v_fmac_f32_e32 v6, v2, v60
	v_mul_f32_e32 v2, v2, v61
	v_fma_f32 v7, v3, v60, -v2
	s_waitcnt vmcnt(24)
	v_mul_f32_e32 v2, v1, v39
	v_fmac_f32_e32 v2, v0, v38
	v_mul_f32_e32 v0, v0, v39
	v_fma_f32 v3, v1, v38, -v0
	s_waitcnt vmcnt(22)
	v_mul_f32_e32 v0, v11, v59
	v_mul_f32_e32 v1, v10, v59
	v_fmac_f32_e32 v0, v10, v58
	v_fma_f32 v1, v11, v58, -v1
	ds_write_b64 v151, v[2:3] offset:4312
	ds_write2_b64 v151, v[6:7], v[0:1] offset1:77
	s_waitcnt vmcnt(20)
	v_mul_f32_e32 v0, v14, v57
	v_fma_f32 v3, v15, v56, -v0
	s_waitcnt vmcnt(18)
	v_mul_f32_e32 v0, v16, v55
	v_mul_f32_e32 v2, v15, v57
	v_fma_f32 v5, v17, v54, -v0
	s_waitcnt vmcnt(16)
	v_mul_f32_e32 v6, v13, v53
	v_mul_f32_e32 v0, v12, v53
	v_fmac_f32_e32 v2, v14, v56
	v_fmac_f32_e32 v6, v12, v52
	v_fma_f32 v7, v13, v52, -v0
	v_add_u32_e32 v0, 0x1000, v151
	v_mul_f32_e32 v4, v17, v55
	ds_write2_b64 v0, v[2:3], v[6:7] offset0:104 offset1:181
	s_waitcnt vmcnt(14)
	v_mul_f32_e32 v2, v19, v51
	v_mul_f32_e32 v1, v18, v51
	v_fmac_f32_e32 v4, v16, v54
	v_fmac_f32_e32 v2, v18, v50
	v_fma_f32 v3, v19, v50, -v1
	s_waitcnt vmcnt(12)
	v_mul_f32_e32 v1, v20, v49
	ds_write2_b64 v151, v[4:5], v[2:3] offset0:154 offset1:231
	v_fma_f32 v3, v21, v48, -v1
	s_waitcnt vmcnt(10)
	v_mul_f32_e32 v1, v22, v47
	v_mul_f32_e32 v2, v21, v49
	v_fma_f32 v5, v23, v46, -v1
	s_waitcnt vmcnt(8)
	v_mul_f32_e32 v6, v25, v45
	v_mul_f32_e32 v1, v24, v45
	v_fmac_f32_e32 v2, v20, v48
	v_fmac_f32_e32 v6, v24, v44
	v_fma_f32 v7, v25, v44, -v1
	v_add_u32_e32 v1, 0x1800, v151
	v_mul_f32_e32 v4, v23, v47
	ds_write2_b64 v1, v[2:3], v[6:7] offset0:2 offset1:79
	s_waitcnt vmcnt(6)
	v_mul_f32_e32 v6, v27, v43
	v_mul_f32_e32 v2, v26, v43
	v_fmac_f32_e32 v4, v22, v46
	v_fmac_f32_e32 v6, v26, v42
	v_fma_f32 v7, v27, v42, -v2
	v_add_u32_e32 v2, 0x800, v151
	s_waitcnt vmcnt(4)
	v_mul_f32_e32 v3, v28, v41
	ds_write2_b64 v2, v[4:5], v[6:7] offset0:52 offset1:129
	v_fma_f32 v5, v29, v40, -v3
	s_waitcnt vmcnt(2)
	v_mul_f32_e32 v6, v31, v37
	v_mul_f32_e32 v3, v30, v37
	v_fmac_f32_e32 v6, v30, v36
	v_fma_f32 v7, v31, v36, -v3
	v_mul_f32_e32 v4, v29, v41
	ds_write_b64 v151, v[6:7] offset:3696
	s_waitcnt vmcnt(0)
	v_mul_f32_e32 v6, v33, v35
	v_mul_f32_e32 v3, v32, v35
	v_fmac_f32_e32 v4, v28, v40
	v_fmac_f32_e32 v6, v32, v34
	v_fma_f32 v7, v33, v34, -v3
	v_accvgpr_write_b32 a2, v36
	v_accvgpr_write_b32 a0, v34
	ds_write2_b64 v1, v[4:5], v[6:7] offset0:156 offset1:233
	s_waitcnt lgkmcnt(0)
	s_barrier
	ds_read2_b64 v[4:7], v2 offset0:52 offset1:129
	ds_read2_b64 v[8:11], v1 offset0:156 offset1:233
	;; [unrolled: 1-line block ×4, first 2 shown]
	v_accvgpr_write_b32 a3, v37
	v_accvgpr_write_b32 a1, v35
	v_add_u32_e32 v3, 0xc00, v151
	ds_read2_b64 v[22:25], v1 offset0:2 offset1:79
	ds_read2_b64 v[26:29], v3 offset0:78 offset1:155
	ds_read2_b64 v[34:37], v151 offset1:77
	v_accvgpr_write_b32 a6, v42
	v_accvgpr_write_b32 a7, v43
	;; [unrolled: 1-line block ×3, first 2 shown]
	s_waitcnt lgkmcnt(3)
	v_pk_add_f32 v[42:43], v[16:17], v[14:15] neg_lo:[0,1] neg_hi:[0,1]
	v_accvgpr_write_b32 a22, v38
	v_accvgpr_write_b32 a5, v41
	v_pk_fma_f32 v[40:41], v[16:17], 2.0, v[42:43] op_sel_hi:[1,0,1] neg_lo:[0,0,1] neg_hi:[0,0,1]
	s_waitcnt lgkmcnt(2)
	v_pk_add_f32 v[16:17], v[18:19], v[22:23] neg_lo:[0,1] neg_hi:[0,1]
	s_waitcnt lgkmcnt(1)
	v_pk_add_f32 v[22:23], v[26:27], v[10:11] neg_lo:[0,1] neg_hi:[0,1]
	;; [unrolled: 2-line block ×3, first 2 shown]
	v_accvgpr_write_b32 a23, v39
	v_lshl_add_u64 v[38:39], v[108:109], 0, s[0:1]
	v_pk_add_f32 v[32:33], v[6:7], v[8:9] neg_lo:[0,1] neg_hi:[0,1]
	v_pk_fma_f32 v[8:9], v[36:37], 2.0, v[10:11] op_sel_hi:[1,0,1] neg_lo:[0,0,1] neg_hi:[0,0,1]
	v_pk_add_f32 v[28:29], v[34:35], v[28:29] neg_lo:[0,1] neg_hi:[0,1]
	v_lshlrev_b16_e32 v12, 1, v108
	v_pk_add_f32 v[36:37], v[4:5], v[24:25] neg_lo:[0,1] neg_hi:[0,1]
	v_accvgpr_write_b32 a26, v60
	v_accvgpr_write_b32 a24, v58
	;; [unrolled: 1-line block ×7, first 2 shown]
	v_pk_fma_f32 v[20:21], v[26:27], 2.0, v[22:23] op_sel_hi:[1,0,1] neg_lo:[0,0,1] neg_hi:[0,0,1]
	v_pk_fma_f32 v[26:27], v[34:35], 2.0, v[28:29] op_sel_hi:[1,0,1] neg_lo:[0,0,1] neg_hi:[0,0,1]
	v_lshl_add_u32 v173, v12, 3, v112
	v_lshl_add_u32 v12, v38, 4, v112
	;; [unrolled: 1-line block ×3, first 2 shown]
	v_pk_fma_f32 v[34:35], v[4:5], 2.0, v[36:37] op_sel_hi:[1,0,1] neg_lo:[0,0,1] neg_hi:[0,0,1]
	v_pk_fma_f32 v[30:31], v[6:7], 2.0, v[32:33] op_sel_hi:[1,0,1] neg_lo:[0,0,1] neg_hi:[0,0,1]
	v_accvgpr_write_b32 a27, v61
	v_accvgpr_write_b32 a25, v59
	;; [unrolled: 1-line block ×7, first 2 shown]
	v_pk_fma_f32 v[14:15], v[18:19], 2.0, v[16:17] op_sel_hi:[1,0,1] neg_lo:[0,0,1] neg_hi:[0,0,1]
	s_barrier
	ds_write_b128 v173, v[26:29]
	ds_write_b128 v12, v[8:11]
	ds_write_b128 v39, v[40:43] offset:2464
	ds_write_b128 v39, v[14:17] offset:3696
	;; [unrolled: 1-line block ×5, first 2 shown]
	s_waitcnt lgkmcnt(0)
	s_barrier
	ds_read2_b64 v[34:37], v151 offset1:98
	v_add_u32_e32 v4, 0x400, v151
	ds_read_b64 v[68:69], v151 offset:7840
	ds_read2_b64 v[60:63], v4 offset0:68 offset1:166
	ds_read2_b64 v[56:59], v2 offset0:136 offset1:234
	;; [unrolled: 1-line block ×4, first 2 shown]
	v_accvgpr_write_b32 a18, v54
	v_accvgpr_write_b32 a16, v52
	;; [unrolled: 1-line block ×5, first 2 shown]
                                        ; implicit-def: $vgpr24
                                        ; implicit-def: $vgpr28
                                        ; implicit-def: $vgpr54
	s_and_saveexec_b64 s[0:1], vcc
	s_cbranch_execz .LBB0_3
; %bb.2:
	ds_read2_b64 v[4:7], v151 offset0:77 offset1:175
	ds_read2_b64 v[64:67], v2 offset0:17 offset1:115
	ds_read2_b64 v[52:55], v3 offset0:85 offset1:183
	ds_read2_b64 v[24:27], v0 offset0:153 offset1:251
	ds_read2_b64 v[28:31], v1 offset0:93 offset1:191
	ds_read_b64 v[70:71], v151 offset:8456
	s_waitcnt lgkmcnt(5)
	v_mov_b64_e32 v[32:33], v[4:5]
	s_waitcnt lgkmcnt(4)
	v_mov_b64_e32 v[22:23], v[64:65]
	v_mov_b64_e32 v[20:21], v[6:7]
	s_waitcnt lgkmcnt(2)
	v_mov_b32_e32 v64, v25
	v_mov_b32_e32 v72, v27
	s_waitcnt lgkmcnt(1)
	v_mov_b32_e32 v74, v29
	v_mov_b32_e32 v76, v31
	;; [unrolled: 3-line block ×3, first 2 shown]
	v_mov_b32_e32 v82, v53
	v_mov_b32_e32 v84, v67
.LBB0_3:
	s_or_b64 exec, exec, s[0:1]
	v_and_b32_e32 v0, 1, v38
	v_accvgpr_write_b32 a28, v0
	v_mul_u32_u24_e32 v0, 10, v0
	v_lshlrev_b32_e32 v25, 3, v0
	global_load_dwordx4 v[0:3], v25, s[10:11]
	global_load_dwordx4 v[8:11], v25, s[10:11] offset:16
	global_load_dwordx4 v[4:7], v25, s[10:11] offset:32
	;; [unrolled: 1-line block ×4, first 2 shown]
	v_and_b32_e32 v104, 1, v108
	v_mul_u32_u24_e32 v25, 10, v104
	s_mov_b32 s0, 0xbf4178ce
	s_mov_b32 s18, 0x3e903f40
	v_lshlrev_b32_e32 v105, 3, v25
	s_mov_b32 s16, 0xbf27a4f4
	s_mov_b32 s26, 0xbf75a155
	global_load_dwordx4 v[40:43], v105, s[10:11] offset:64
	s_mov_b32 s12, 0xbf68dda4
	s_mov_b32 s20, 0x3ed4b147
	;; [unrolled: 1-line block ×16, first 2 shown]
	s_waitcnt vmcnt(5)
	v_pk_mul_f32 v[86:87], v[20:21], v[0:1] op_sel:[1,0]
	v_pk_mul_f32 v[88:89], v[22:23], v[2:3] op_sel:[1,0]
	s_waitcnt vmcnt(4)
	v_pk_mul_f32 v[90:91], v[84:85], v[8:9] op_sel_hi:[0,1]
	s_waitcnt vmcnt(2)
	v_pk_mul_f32 v[74:75], v[74:75], v[14:15] op_sel_hi:[0,1]
	;; [unrolled: 2-line block ×3, first 2 shown]
	v_pk_mul_f32 v[92:93], v[64:65], v[6:7] op_sel_hi:[0,1]
	v_pk_fma_f32 v[64:65], v[20:21], v[0:1], v[86:87] op_sel:[0,0,1] op_sel_hi:[1,1,0] neg_lo:[0,0,1] neg_hi:[0,0,1]
	v_pk_fma_f32 v[20:21], v[20:21], v[0:1], v[86:87] op_sel:[0,0,1] op_sel_hi:[0,1,0]
	v_pk_fma_f32 v[84:85], v[22:23], v[2:3], v[88:89] op_sel:[0,0,1] op_sel_hi:[1,1,0] neg_lo:[0,0,1] neg_hi:[0,0,1]
	v_pk_fma_f32 v[22:23], v[22:23], v[2:3], v[88:89] op_sel:[0,0,1] op_sel_hi:[0,1,0]
	;; [unrolled: 2-line block ×5, first 2 shown]
	v_mov_b32_e32 v85, v23
	v_mov_b32_e32 v87, v101
	;; [unrolled: 1-line block ×4, first 2 shown]
	v_pk_mul_f32 v[82:83], v[82:83], v[10:11] op_sel_hi:[0,1]
	v_pk_mul_f32 v[80:81], v[80:81], v[4:5] op_sel_hi:[0,1]
	v_pk_fma_f32 v[90:91], v[24:25], v[6:7], v[92:93] op_sel:[0,0,1] op_sel_hi:[1,1,0] neg_lo:[0,0,1] neg_hi:[0,0,1]
	v_pk_fma_f32 v[24:25], v[24:25], v[6:7], v[92:93] op_sel:[0,0,1] op_sel_hi:[0,1,0]
	v_pk_add_f32 v[184:185], v[84:85], v[96:97] neg_lo:[0,1] neg_hi:[0,1]
	v_pk_add_f32 v[190:191], v[86:87], v[94:95] neg_lo:[0,1] neg_hi:[0,1]
	v_pk_fma_f32 v[66:67], v[52:53], v[10:11], v[82:83] op_sel:[0,0,1] op_sel_hi:[1,1,0] neg_lo:[0,0,1] neg_hi:[0,0,1]
	v_pk_fma_f32 v[52:53], v[52:53], v[10:11], v[82:83] op_sel:[0,0,1] op_sel_hi:[0,1,0]
	v_pk_fma_f32 v[88:89], v[54:55], v[4:5], v[80:81] op_sel:[0,0,1] op_sel_hi:[1,1,0] neg_lo:[0,0,1] neg_hi:[0,0,1]
	v_pk_fma_f32 v[54:55], v[54:55], v[4:5], v[80:81] op_sel:[0,0,1] op_sel_hi:[0,1,0]
	v_mov_b32_e32 v91, v25
	v_pk_add_f32 v[182:183], v[84:85], v[96:97]
	v_pk_add_f32 v[188:189], v[86:87], v[94:95]
	v_pk_mul_f32 v[22:23], v[184:185], s[0:1] op_sel:[1,0] op_sel_hi:[0,0]
	v_pk_mul_f32 v[24:25], v[190:191], s[18:19] op_sel:[1,0] op_sel_hi:[0,0]
	v_mov_b32_e32 v67, v53
	v_mov_b32_e32 v89, v55
	v_pk_fma_f32 v[54:55], v[182:183], s[16:17], v[22:23] op_sel_hi:[1,0,1]
	v_pk_fma_f32 v[52:53], v[188:189], s[26:27], v[24:25] op_sel_hi:[1,0,1]
	v_pk_fma_f32 v[110:111], v[182:183], s[16:17], v[22:23] op_sel_hi:[1,0,1] neg_lo:[0,0,1] neg_hi:[0,0,1]
	v_pk_fma_f32 v[106:107], v[188:189], s[26:27], v[24:25] op_sel_hi:[1,0,1] neg_lo:[0,0,1] neg_hi:[0,0,1]
	v_accvgpr_write_b32 a35, v55
	v_mov_b32_e32 v22, v54
	v_accvgpr_write_b32 a33, v53
	v_mov_b32_e32 v24, v52
	global_load_dwordx4 v[52:55], v105, s[10:11]
	global_load_dwordx4 v[80:83], v105, s[10:11] offset:16
	v_pk_mul_f32 v[78:79], v[78:79], v[18:19] op_sel_hi:[0,1]
	v_pk_fma_f32 v[98:99], v[70:71], v[18:19], v[78:79] op_sel:[0,0,1] op_sel_hi:[1,1,0] neg_lo:[0,0,1] neg_hi:[0,0,1]
	v_pk_fma_f32 v[70:71], v[70:71], v[18:19], v[78:79] op_sel:[0,0,1] op_sel_hi:[0,1,0]
	global_load_dwordx4 v[76:79], v105, s[10:11] offset:32
	v_pk_mul_f32 v[72:73], v[72:73], v[12:13] op_sel_hi:[0,1]
	v_pk_fma_f32 v[92:93], v[26:27], v[12:13], v[72:73] op_sel:[0,0,1] op_sel_hi:[1,1,0] neg_lo:[0,0,1] neg_hi:[0,0,1]
	v_pk_fma_f32 v[26:27], v[26:27], v[12:13], v[72:73] op_sel:[0,0,1] op_sel_hi:[0,1,0]
	global_load_dwordx4 v[72:75], v105, s[10:11] offset:48
	v_mov_b32_e32 v65, v21
	v_mov_b32_e32 v99, v71
	v_pk_add_f32 v[180:181], v[64:65], v[98:99] neg_lo:[0,1] neg_hi:[0,1]
	v_pk_add_f32 v[174:175], v[64:65], v[98:99]
	v_pk_mul_f32 v[20:21], v[180:181], s[12:13] op_sel:[1,0] op_sel_hi:[0,0]
	v_pk_fma_f32 v[70:71], v[174:175], s[20:21], v[20:21] op_sel_hi:[1,0,1]
	v_pk_fma_f32 v[114:115], v[174:175], s[20:21], v[20:21] op_sel_hi:[1,0,1] neg_lo:[0,0,1] neg_hi:[0,0,1]
	v_mov_b32_e32 v20, v70
	v_mov_b32_e32 v21, v115
	;; [unrolled: 1-line block ×3, first 2 shown]
	v_pk_add_f32 v[20:21], v[32:33], v[20:21]
	v_pk_mul_f32 v[28:29], v[180:181], s[14:15] op_sel:[1,0] op_sel_hi:[0,0]
	v_mov_b32_e32 v25, v107
	v_pk_add_f32 v[20:21], v[22:23], v[20:21]
	v_pk_fma_f32 v[116:117], v[174:175], s[24:25], v[28:29] op_sel_hi:[1,0,1]
	v_pk_fma_f32 v[102:103], v[174:175], s[24:25], v[28:29] op_sel_hi:[1,0,1] neg_lo:[0,0,1] neg_hi:[0,0,1]
	v_pk_add_f32 v[20:21], v[24:25], v[20:21]
	v_pk_mul_f32 v[24:25], v[184:185], s[18:19] op_sel:[1,0] op_sel_hi:[0,0]
	v_mov_b32_e32 v28, v116
	v_mov_b32_e32 v29, v103
	v_pk_fma_f32 v[124:125], v[182:183], s[26:27], v[24:25] op_sel_hi:[1,0,1]
	v_pk_fma_f32 v[122:123], v[182:183], s[26:27], v[24:25] op_sel_hi:[1,0,1] neg_lo:[0,0,1] neg_hi:[0,0,1]
	v_pk_add_f32 v[22:23], v[32:33], v[28:29]
	v_mov_b32_e32 v24, v124
	v_mov_b32_e32 v25, v123
	v_pk_add_f32 v[22:23], v[24:25], v[22:23]
	v_pk_mul_f32 v[24:25], v[190:191], s[36:37] op_sel:[1,0] op_sel_hi:[0,0]
	v_mov_b32_e32 v93, v27
	v_pk_fma_f32 v[128:129], v[188:189], s[20:21], v[24:25] op_sel_hi:[1,0,1]
	v_pk_fma_f32 v[130:131], v[188:189], s[20:21], v[24:25] op_sel_hi:[1,0,1] neg_lo:[0,0,1] neg_hi:[0,0,1]
	v_pk_add_f32 v[194:195], v[66:67], v[92:93] neg_lo:[0,1] neg_hi:[0,1]
	v_mov_b32_e32 v24, v128
	v_mov_b32_e32 v25, v131
	v_pk_add_f32 v[192:193], v[66:67], v[92:93]
	v_pk_add_f32 v[22:23], v[24:25], v[22:23]
	v_pk_mul_f32 v[24:25], v[194:195], s[28:29] op_sel:[1,0] op_sel_hi:[0,0]
	v_pk_mul_f32 v[26:27], v[194:195], s[22:23] op_sel:[1,0] op_sel_hi:[0,0]
	v_pk_fma_f32 v[164:165], v[192:193], s[38:39], v[24:25] op_sel_hi:[1,0,1]
	v_pk_fma_f32 v[176:177], v[192:193], s[38:39], v[24:25] op_sel_hi:[1,0,1] neg_lo:[0,0,1] neg_hi:[0,0,1]
	v_pk_fma_f32 v[30:31], v[192:193], s[24:25], v[26:27] op_sel_hi:[1,0,1]
	v_pk_fma_f32 v[100:101], v[192:193], s[24:25], v[26:27] op_sel_hi:[1,0,1] neg_lo:[0,0,1] neg_hi:[0,0,1]
	v_mov_b32_e32 v24, v164
	v_mov_b32_e32 v25, v177
	v_pk_add_f32 v[198:199], v[88:89], v[90:91] neg_lo:[0,1] neg_hi:[0,1]
	v_mov_b32_e32 v26, v30
	v_mov_b32_e32 v27, v101
	v_pk_add_f32 v[24:25], v[24:25], v[22:23]
	v_pk_add_f32 v[196:197], v[88:89], v[90:91]
	v_pk_mul_f32 v[22:23], v[198:199], s[34:35] op_sel:[1,0] op_sel_hi:[0,0]
	v_pk_add_f32 v[20:21], v[26:27], v[20:21]
	v_pk_fma_f32 v[26:27], v[196:197], s[38:39], v[22:23] op_sel_hi:[1,0,1]
	v_pk_fma_f32 v[120:121], v[196:197], s[38:39], v[22:23] op_sel_hi:[1,0,1] neg_lo:[0,0,1] neg_hi:[0,0,1]
	v_mov_b32_e32 v22, v26
	v_mov_b32_e32 v23, v121
	v_pk_add_f32 v[22:23], v[22:23], v[20:21]
	v_pk_mul_f32 v[20:21], v[198:199], s[0:1] op_sel:[1,0] op_sel_hi:[0,0]
	v_pk_fma_f32 v[178:179], v[196:197], s[16:17], v[20:21] op_sel_hi:[1,0,1] neg_lo:[0,0,1] neg_hi:[0,0,1]
	v_pk_fma_f32 v[20:21], v[196:197], s[16:17], v[20:21] op_sel_hi:[1,0,1]
	v_accvgpr_write_b32 a39, v27
	v_mov_b32_e32 v127, v21
	v_mov_b32_e32 v21, v179
	v_pk_add_f32 v[20:21], v[20:21], v[24:25]
	v_pk_mul_f32 v[24:25], v[180:181], s[0:1] op_sel:[1,0] op_sel_hi:[0,0]
	v_pk_fma_f32 v[28:29], v[174:175], s[16:17], v[24:25] op_sel_hi:[1,0,1]
	v_pk_fma_f32 v[24:25], v[174:175], s[16:17], v[24:25] op_sel_hi:[1,0,1] neg_lo:[0,0,1] neg_hi:[0,0,1]
	v_pk_mul_f32 v[26:27], v[184:185], s[22:23] op_sel:[1,0] op_sel_hi:[0,0]
	v_accvgpr_write_b32 a31, v31
	v_pk_fma_f32 v[30:31], v[182:183], s[24:25], v[26:27] op_sel_hi:[1,0,1]
	v_pk_fma_f32 v[26:27], v[182:183], s[24:25], v[26:27] op_sel_hi:[1,0,1] neg_lo:[0,0,1] neg_hi:[0,0,1]
	v_mov_b32_e32 v167, v25
	v_mov_b32_e32 v25, v29
	v_pk_add_f32 v[24:25], v[32:33], v[24:25]
	v_mov_b32_e32 v29, v27
	v_mov_b32_e32 v27, v31
	v_pk_add_f32 v[24:25], v[26:27], v[24:25]
	v_pk_mul_f32 v[26:27], v[190:191], s[28:29] op_sel:[1,0] op_sel_hi:[0,0]
	v_pk_fma_f32 v[168:169], v[188:189], s[38:39], v[26:27] op_sel_hi:[1,0,1]
	v_pk_fma_f32 v[26:27], v[188:189], s[38:39], v[26:27] op_sel_hi:[1,0,1] neg_lo:[0,0,1] neg_hi:[0,0,1]
	v_pk_mul_f32 v[200:201], v[184:185], s[34:35] op_sel:[1,0] op_sel_hi:[0,0]
	v_mov_b32_e32 v31, v27
	v_mov_b32_e32 v27, v169
	v_pk_add_f32 v[24:25], v[26:27], v[24:25]
	v_pk_mul_f32 v[26:27], v[194:195], s[30:31] op_sel:[1,0] op_sel_hi:[0,0]
	v_pk_fma_f32 v[170:171], v[192:193], s[26:27], v[26:27] op_sel_hi:[1,0,1]
	v_pk_fma_f32 v[26:27], v[192:193], s[26:27], v[26:27] op_sel_hi:[1,0,1] neg_lo:[0,0,1] neg_hi:[0,0,1]
	v_pk_fma_f32 v[202:203], v[182:183], s[38:39], v[200:201] op_sel_hi:[1,0,1]
	v_mov_b32_e32 v169, v27
	v_mov_b32_e32 v27, v171
	v_pk_add_f32 v[24:25], v[26:27], v[24:25]
	v_pk_mul_f32 v[26:27], v[180:181], s[30:31] op_sel:[1,0] op_sel_hi:[0,0]
	v_pk_fma_f32 v[186:187], v[174:175], s[26:27], v[26:27] op_sel_hi:[1,0,1]
	v_pk_fma_f32 v[26:27], v[174:175], s[26:27], v[26:27] op_sel_hi:[1,0,1] neg_lo:[0,0,1] neg_hi:[0,0,1]
	v_pk_fma_f32 v[200:201], v[182:183], s[38:39], v[200:201] op_sel_hi:[1,0,1] neg_lo:[0,0,1] neg_hi:[0,0,1]
	v_mov_b32_e32 v205, v27
	v_mov_b32_e32 v27, v187
	v_pk_add_f32 v[26:27], v[32:33], v[26:27]
	v_mov_b32_e32 v187, v201
	v_mov_b32_e32 v201, v203
	v_pk_add_f32 v[26:27], v[200:201], v[26:27]
	v_pk_mul_f32 v[200:201], v[190:191], s[0:1] op_sel:[1,0] op_sel_hi:[0,0]
	v_pk_fma_f32 v[206:207], v[188:189], s[16:17], v[200:201] op_sel_hi:[1,0,1]
	v_pk_fma_f32 v[200:201], v[188:189], s[16:17], v[200:201] op_sel_hi:[1,0,1] neg_lo:[0,0,1] neg_hi:[0,0,1]
	v_mov_b32_e32 v166, v28
	v_mov_b32_e32 v203, v201
	;; [unrolled: 1-line block ×3, first 2 shown]
	v_pk_add_f32 v[26:27], v[200:201], v[26:27]
	v_pk_mul_f32 v[200:201], v[194:195], s[36:37] op_sel:[1,0] op_sel_hi:[0,0]
	v_pk_fma_f32 v[210:211], v[192:193], s[20:21], v[200:201] op_sel_hi:[1,0,1]
	v_pk_fma_f32 v[200:201], v[192:193], s[20:21], v[200:201] op_sel_hi:[1,0,1] neg_lo:[0,0,1] neg_hi:[0,0,1]
	v_mov_b32_e32 v28, v30
	v_mov_b32_e32 v207, v201
	;; [unrolled: 1-line block ×3, first 2 shown]
	v_pk_add_f32 v[166:167], v[32:33], v[166:167]
	v_pk_add_f32 v[26:27], v[200:201], v[26:27]
	v_pk_mul_f32 v[200:201], v[198:199], s[36:37] op_sel:[1,0] op_sel_hi:[0,0]
	v_pk_add_f32 v[28:29], v[28:29], v[166:167]
	v_mov_b32_e32 v30, v168
	v_pk_fma_f32 v[212:213], v[196:197], s[20:21], v[200:201] op_sel_hi:[1,0,1] neg_lo:[0,0,1] neg_hi:[0,0,1]
	v_pk_fma_f32 v[200:201], v[196:197], s[20:21], v[200:201] op_sel_hi:[1,0,1]
	v_pk_add_f32 v[28:29], v[30:31], v[28:29]
	v_mov_b32_e32 v168, v170
	s_waitcnt vmcnt(3)
	v_mov_b32_e32 v164, v55
	v_mov_b32_e32 v215, v201
	;; [unrolled: 1-line block ×3, first 2 shown]
	v_pk_add_f32 v[28:29], v[168:169], v[28:29]
	v_mov_b32_e32 v201, v213
	s_waitcnt lgkmcnt(3)
	v_pk_mul_f32 v[166:167], v[60:61], v[164:165] op_sel_hi:[1,0]
	v_mov_b32_e32 v186, v202
	v_pk_add_f32 v[204:205], v[32:33], v[204:205]
	v_pk_add_f32 v[30:31], v[200:201], v[28:29]
	v_pk_fma_f32 v[200:201], v[60:61], v[54:55], v[166:167] op_sel:[0,0,1] op_sel_hi:[1,1,0] neg_lo:[0,0,1] neg_hi:[0,0,1]
	v_pk_fma_f32 v[166:167], v[60:61], v[54:55], v[166:167] op_sel:[0,0,1] op_sel_hi:[1,0,0]
	v_mov_b32_e32 v214, v212
	v_pk_add_f32 v[186:187], v[186:187], v[204:205]
	v_mov_b32_e32 v202, v206
	s_waitcnt vmcnt(2)
	v_pk_mul_f32 v[60:61], v[62:63], v[80:81] op_sel:[0,1]
	v_mov_b32_e32 v166, v83
	v_pk_add_f32 v[24:25], v[214:215], v[24:25]
	v_pk_mul_f32 v[214:215], v[198:199], s[14:15] op_sel:[1,0] op_sel_hi:[0,0]
	v_pk_add_f32 v[186:187], v[202:203], v[186:187]
	v_pk_fma_f32 v[202:203], v[62:63], v[80:81], v[60:61] op_sel:[0,0,1] op_sel_hi:[1,1,0] neg_lo:[0,0,1] neg_hi:[0,0,1]
	v_pk_fma_f32 v[168:169], v[62:63], v[80:81], v[60:61] op_sel:[0,0,1] op_sel_hi:[1,0,0]
	s_waitcnt lgkmcnt(2)
	v_pk_mul_f32 v[60:61], v[56:57], v[166:167] op_sel_hi:[1,0]
	v_pk_fma_f32 v[216:217], v[196:197], s[24:25], v[214:215] op_sel_hi:[1,0,1] neg_lo:[0,0,1] neg_hi:[0,0,1]
	v_pk_fma_f32 v[214:215], v[196:197], s[24:25], v[214:215] op_sel_hi:[1,0,1]
	v_mov_b32_e32 v206, v210
	v_pk_fma_f32 v[204:205], v[56:57], v[82:83], v[60:61] op_sel:[0,0,1] op_sel_hi:[1,1,0] neg_lo:[0,0,1] neg_hi:[0,0,1]
	v_pk_fma_f32 v[170:171], v[56:57], v[82:83], v[60:61] op_sel:[0,0,1] op_sel_hi:[1,0,0]
	s_waitcnt vmcnt(1)
	v_pk_mul_f32 v[56:57], v[58:59], v[76:77] op_sel:[0,1]
	v_mov_b32_e32 v168, v79
	v_mov_b32_e32 v219, v215
	v_pk_add_f32 v[186:187], v[206:207], v[186:187]
	v_mov_b32_e32 v215, v217
	v_pk_fma_f32 v[206:207], v[58:59], v[76:77], v[56:57] op_sel:[0,0,1] op_sel_hi:[1,1,0] neg_lo:[0,0,1] neg_hi:[0,0,1]
	v_pk_fma_f32 v[210:211], v[58:59], v[76:77], v[56:57] op_sel:[0,0,1] op_sel_hi:[1,0,0]
	s_waitcnt lgkmcnt(1)
	v_pk_mul_f32 v[56:57], v[48:49], v[168:169] op_sel_hi:[1,0]
	v_mov_b32_e32 v218, v216
	v_pk_add_f32 v[28:29], v[214:215], v[186:187]
	v_pk_fma_f32 v[212:213], v[48:49], v[78:79], v[56:57] op_sel:[0,0,1] op_sel_hi:[1,1,0] neg_lo:[0,0,1] neg_hi:[0,0,1]
	v_pk_fma_f32 v[214:215], v[48:49], v[78:79], v[56:57] op_sel:[0,0,1] op_sel_hi:[1,0,0]
	s_waitcnt vmcnt(0)
	v_pk_mul_f32 v[48:49], v[50:51], v[72:73] op_sel:[0,1]
	v_mov_b32_e32 v170, v75
	v_pk_add_f32 v[26:27], v[218:219], v[26:27]
	v_pk_fma_f32 v[216:217], v[50:51], v[72:73], v[48:49] op_sel:[0,0,1] op_sel_hi:[1,1,0] neg_lo:[0,0,1] neg_hi:[0,0,1]
	v_pk_fma_f32 v[218:219], v[50:51], v[72:73], v[48:49] op_sel:[0,0,1] op_sel_hi:[1,0,0]
	s_waitcnt lgkmcnt(0)
	v_pk_mul_f32 v[48:49], v[44:45], v[170:171] op_sel_hi:[1,0]
	v_mov_b32_e32 v172, v43
	v_pk_fma_f32 v[220:221], v[44:45], v[74:75], v[48:49] op_sel:[0,0,1] op_sel_hi:[1,1,0] neg_lo:[0,0,1] neg_hi:[0,0,1]
	v_pk_fma_f32 v[222:223], v[44:45], v[74:75], v[48:49] op_sel:[0,0,1] op_sel_hi:[1,0,0]
	v_pk_mul_f32 v[44:45], v[46:47], v[40:41] op_sel:[0,1]
	v_pk_mul_f32 v[48:49], v[184:185], s[12:13] op_sel:[1,0] op_sel_hi:[0,0]
	v_pk_fma_f32 v[224:225], v[46:47], v[40:41], v[44:45] op_sel:[0,0,1] op_sel_hi:[1,1,0] neg_lo:[0,0,1] neg_hi:[0,0,1]
	v_pk_fma_f32 v[226:227], v[46:47], v[40:41], v[44:45] op_sel:[0,0,1] op_sel_hi:[1,0,0]
	v_pk_mul_f32 v[46:47], v[180:181], s[28:29] op_sel:[1,0] op_sel_hi:[0,0]
	v_pk_fma_f32 v[44:45], v[174:175], s[38:39], v[46:47] op_sel_hi:[1,0,1]
	v_pk_fma_f32 v[186:187], v[174:175], s[38:39], v[46:47] op_sel_hi:[1,0,1] neg_lo:[0,0,1] neg_hi:[0,0,1]
	v_pk_mul_f32 v[174:175], v[68:69], v[172:173] op_sel_hi:[1,0]
	v_pk_fma_f32 v[46:47], v[182:183], s[20:21], v[48:49] op_sel_hi:[1,0,1]
	v_pk_fma_f32 v[184:185], v[182:183], s[20:21], v[48:49] op_sel_hi:[1,0,1] neg_lo:[0,0,1] neg_hi:[0,0,1]
	v_pk_fma_f32 v[180:181], v[68:69], v[42:43], v[174:175] op_sel:[0,0,1] op_sel_hi:[1,0,0] neg_lo:[0,0,1] neg_hi:[0,0,1]
	v_pk_fma_f32 v[174:175], v[68:69], v[42:43], v[174:175] op_sel:[0,0,1] op_sel_hi:[1,0,0]
	v_mov_b32_e32 v68, v53
	v_pk_mul_f32 v[182:183], v[36:37], v[52:53] op_sel:[1,0] op_sel_hi:[0,1]
	v_pk_mul_f32 v[68:69], v[36:37], v[68:69] op_sel:[1,0] op_sel_hi:[0,1]
	v_mov_b32_e32 v70, v183
	v_pk_mul_f32 v[50:51], v[190:191], s[14:15] op_sel:[1,0] op_sel_hi:[0,0]
	v_pk_fma_f32 v[68:69], v[36:37], v[52:53], v[68:69] neg_lo:[0,0,1] neg_hi:[0,0,1]
	v_pk_fma_f32 v[36:37], v[36:37], v[52:53], v[70:71] op_sel:[1,0,0] op_sel_hi:[0,1,1]
	v_pk_fma_f32 v[48:49], v[188:189], s[24:25], v[50:51] op_sel_hi:[1,0,1]
	v_pk_fma_f32 v[62:63], v[188:189], s[24:25], v[50:51] op_sel_hi:[1,0,1] neg_lo:[0,0,1] neg_hi:[0,0,1]
	v_mov_b32_e32 v188, v68
	v_mov_b32_e32 v189, v36
	;; [unrolled: 1-line block ×3, first 2 shown]
	v_pk_add_f32 v[188:189], v[34:35], v[188:189]
	v_mov_b32_e32 v203, v169
	v_pk_add_f32 v[188:189], v[188:189], v[200:201]
	v_mov_b32_e32 v205, v171
	;; [unrolled: 2-line block ×4, first 2 shown]
	v_mov_b32_e32 v213, v215
	v_mov_b32_e32 v217, v219
	;; [unrolled: 1-line block ×3, first 2 shown]
	v_pk_add_f32 v[188:189], v[188:189], v[206:207]
	v_pk_add_f32 v[218:219], v[68:69], v[180:181]
	v_pk_add_f32 v[180:181], v[68:69], v[180:181] neg_lo:[0,1] neg_hi:[0,1]
	v_pk_add_f32 v[68:69], v[42:43], v[174:175]
	v_pk_add_f32 v[188:189], v[188:189], v[212:213]
	v_mov_b32_e32 v68, v175
	v_pk_mul_f32 v[56:57], v[194:195], s[0:1] op_sel:[1,0] op_sel_hi:[0,0]
	v_pk_mul_f32 v[58:59], v[198:199], s[30:31] op_sel:[1,0] op_sel_hi:[0,0]
	v_mov_b32_e32 v221, v223
	v_mov_b32_e32 v225, v227
	v_pk_add_f32 v[188:189], v[188:189], v[216:217]
	v_pk_add_f32 v[222:223], v[36:37], v[68:69] neg_lo:[0,1] neg_hi:[0,1]
	v_mov_b32_e32 v219, v180
	s_mov_b32 s39, s28
	v_pk_fma_f32 v[50:51], v[192:193], s[16:17], v[56:57] op_sel_hi:[1,0,1]
	v_pk_fma_f32 v[60:61], v[192:193], s[16:17], v[56:57] op_sel_hi:[1,0,1] neg_lo:[0,0,1] neg_hi:[0,0,1]
	v_pk_fma_f32 v[56:57], v[196:197], s[26:27], v[58:59] op_sel_hi:[1,0,1]
	v_pk_fma_f32 v[58:59], v[196:197], s[26:27], v[58:59] op_sel_hi:[1,0,1] neg_lo:[0,0,1] neg_hi:[0,0,1]
	v_mov_b32_e32 v183, v175
	v_pk_add_f32 v[188:189], v[188:189], v[220:221]
	v_pk_add_f32 v[226:227], v[200:201], v[224:225]
	v_pk_add_f32 v[174:175], v[200:201], v[224:225] neg_lo:[0,1] neg_hi:[0,1]
	v_mov_b32_e32 v68, v222
	s_mov_b32 s29, s38
	v_pk_mul_f32 v[196:197], v[218:219], s[38:39]
	v_pk_add_f32 v[188:189], v[188:189], v[224:225]
	v_mov_b32_e32 v36, v175
	v_mov_b32_e32 v37, v227
	;; [unrolled: 1-line block ×3, first 2 shown]
	v_pk_fma_f32 v[180:181], v[222:223], s[28:29], v[196:197] neg_lo:[1,0,0] neg_hi:[1,0,0]
	v_pk_fma_f32 v[174:175], v[68:69], s[28:29], v[196:197]
	s_mov_b32 s21, s12
	v_pk_add_f32 v[214:215], v[188:189], v[182:183]
	v_mov_b32_e32 v181, v175
	s_mov_b32 s13, s20
	v_pk_mul_f32 v[182:183], v[226:227], s[20:21]
	v_pk_add_f32 v[188:189], v[34:35], v[180:181]
	v_pk_fma_f32 v[192:193], v[36:37], s[12:13], v[182:183] neg_lo:[1,0,0] neg_hi:[1,0,0]
	v_pk_fma_f32 v[180:181], v[36:37], s[12:13], v[182:183]
	v_pk_add_f32 v[224:225], v[202:203], v[220:221]
	v_pk_add_f32 v[190:191], v[202:203], v[220:221] neg_lo:[0,1] neg_hi:[0,1]
	v_mov_b32_e32 v193, v181
	v_pk_add_f32 v[194:195], v[192:193], v[188:189]
	v_mov_b32_e32 v189, v225
	v_mov_b32_e32 v225, v190
	s_mov_b32 s25, s14
	v_mov_b32_e32 v188, v191
	s_mov_b32 s15, s24
	v_pk_mul_f32 v[192:193], v[224:225], s[24:25]
	v_pk_add_f32 v[220:221], v[204:205], v[216:217]
	v_pk_fma_f32 v[200:201], v[188:189], s[14:15], v[192:193] neg_lo:[1,0,0] neg_hi:[1,0,0]
	v_pk_fma_f32 v[190:191], v[188:189], s[14:15], v[192:193]
	v_pk_add_f32 v[198:199], v[204:205], v[216:217] neg_lo:[0,1] neg_hi:[0,1]
	v_mov_b32_e32 v201, v191
	v_pk_add_f32 v[202:203], v[200:201], v[194:195]
	v_mov_b32_e32 v195, v221
	v_mov_b32_e32 v221, v198
	s_mov_b32 s17, s0
	v_mov_b32_e32 v194, v199
	s_mov_b32 s1, s16
	v_pk_mul_f32 v[200:201], v[220:221], s[16:17]
	v_pk_add_f32 v[216:217], v[206:207], v[212:213]
	v_pk_add_f32 v[204:205], v[206:207], v[212:213] neg_lo:[0,1] neg_hi:[0,1]
	v_pk_fma_f32 v[206:207], v[194:195], s[0:1], v[200:201] neg_lo:[1,0,0] neg_hi:[1,0,0]
	v_pk_fma_f32 v[198:199], v[194:195], s[0:1], v[200:201]
	s_mov_b32 s27, s30
	v_mov_b32_e32 v207, v199
	v_pk_add_f32 v[210:211], v[206:207], v[202:203]
	v_mov_b32_e32 v203, v217
	v_mov_b32_e32 v217, v204
	;; [unrolled: 1-line block ×3, first 2 shown]
	s_mov_b32 s31, s26
	v_pk_mul_f32 v[206:207], v[216:217], s[26:27]
	v_lshrrev_b32_e32 v43, 1, v108
	v_pk_fma_f32 v[212:213], v[202:203], s[30:31], v[206:207] neg_lo:[1,0,0] neg_hi:[1,0,0]
	v_pk_fma_f32 v[204:205], v[202:203], s[30:31], v[206:207]
	v_mul_u32_u24_e32 v43, 22, v43
	v_mov_b32_e32 v213, v205
	v_or_b32_e32 v43, v43, v104
	v_pk_add_f32 v[212:213], v[212:213], v[210:211]
	v_lshl_add_u32 v210, v43, 3, v112
	s_barrier
	ds_write2_b64 v210, v[214:215], v[212:213] offset1:2
	v_pk_mul_f32 v[212:213], v[218:219], s[20:21]
	v_pk_mul_f32 v[230:231], v[226:227], s[16:17]
	v_pk_fma_f32 v[214:215], v[222:223], s[12:13], v[212:213] neg_lo:[1,0,0] neg_hi:[1,0,0]
	v_pk_fma_f32 v[228:229], v[68:69], s[12:13], v[212:213]
	v_pk_fma_f32 v[232:233], v[36:37], s[0:1], v[230:231] neg_lo:[1,0,0] neg_hi:[1,0,0]
	v_mov_b32_e32 v215, v229
	v_pk_fma_f32 v[234:235], v[36:37], s[0:1], v[230:231]
	v_pk_add_f32 v[214:215], v[34:35], v[214:215]
	v_mov_b32_e32 v233, v235
	v_pk_add_f32 v[214:215], v[232:233], v[214:215]
	s_mov_b32 s19, s26
	v_pk_mul_f32 v[232:233], v[224:225], s[40:41]
	s_mov_b32 s23, s24
	v_pk_fma_f32 v[236:237], v[188:189], s[18:19], v[232:233] neg_lo:[1,0,0] neg_hi:[1,0,0]
	v_pk_fma_f32 v[238:239], v[188:189], s[18:19], v[232:233]
	s_mov_b32 s35, s38
	v_mov_b32_e32 v237, v239
	v_pk_add_f32 v[214:215], v[236:237], v[214:215]
	v_pk_mul_f32 v[236:237], v[220:221], s[42:43]
	v_pk_mul_f32 v[252:253], v[226:227], s[40:41]
	v_pk_fma_f32 v[240:241], v[194:195], s[22:23], v[236:237] neg_lo:[1,0,0] neg_hi:[1,0,0]
	v_pk_fma_f32 v[242:243], v[194:195], s[22:23], v[236:237]
	v_pk_fma_f32 v[254:255], v[36:37], s[18:19], v[252:253] neg_lo:[1,0,0] neg_hi:[1,0,0]
	v_mov_b32_e32 v241, v243
	v_pk_add_f32 v[214:215], v[240:241], v[214:215]
	v_pk_mul_f32 v[240:241], v[216:217], s[44:45]
	v_pk_fma_f32 v[208:209], v[36:37], s[18:19], v[252:253]
	v_pk_fma_f32 v[244:245], v[202:203], s[34:35], v[240:241] neg_lo:[1,0,0] neg_hi:[1,0,0]
	v_pk_fma_f32 v[246:247], v[202:203], s[34:35], v[240:241]
	v_mov_b32_e32 v255, v209
	v_mov_b32_e32 v245, v247
	v_pk_add_f32 v[214:215], v[244:245], v[214:215]
	v_pk_mul_f32 v[244:245], v[218:219], s[24:25]
	s_mov_b32 s21, s36
	v_pk_fma_f32 v[248:249], v[222:223], s[14:15], v[244:245] neg_lo:[1,0,0] neg_hi:[1,0,0]
	v_pk_fma_f32 v[250:251], v[68:69], s[14:15], v[244:245]
	s_mov_b32 s37, s20
	v_mov_b32_e32 v249, v251
	v_pk_add_f32 v[248:249], v[34:35], v[248:249]
	v_accvgpr_write_b32 a37, v71
	v_pk_add_f32 v[248:249], v[254:255], v[248:249]
	v_pk_mul_f32 v[254:255], v[224:225], s[20:21]
	v_mov_b32_e32 v116, v108
	v_pk_fma_f32 v[70:71], v[188:189], s[36:37], v[254:255] neg_lo:[1,0,0] neg_hi:[1,0,0]
	v_pk_fma_f32 v[104:105], v[188:189], s[36:37], v[254:255]
	v_mov_b32_e32 v43, v112
	v_mov_b32_e32 v71, v105
	v_pk_add_f32 v[70:71], v[70:71], v[248:249]
	v_pk_mul_f32 v[248:249], v[220:221], s[38:39]
	v_pk_mul_f32 v[136:137], v[226:227], s[42:43]
	v_pk_fma_f32 v[108:109], v[194:195], s[28:29], v[248:249] neg_lo:[1,0,0] neg_hi:[1,0,0]
	v_pk_fma_f32 v[112:113], v[194:195], s[28:29], v[248:249]
	v_pk_fma_f32 v[138:139], v[36:37], s[22:23], v[136:137] neg_lo:[1,0,0] neg_hi:[1,0,0]
	v_mov_b32_e32 v109, v113
	v_pk_add_f32 v[70:71], v[108:109], v[70:71]
	v_pk_mul_f32 v[108:109], v[216:217], s[16:17]
	v_pk_fma_f32 v[140:141], v[36:37], s[22:23], v[136:137]
	v_pk_fma_f32 v[132:133], v[202:203], s[0:1], v[108:109] neg_lo:[1,0,0] neg_hi:[1,0,0]
	v_pk_fma_f32 v[134:135], v[202:203], s[0:1], v[108:109]
	v_mov_b32_e32 v139, v141
	v_mov_b32_e32 v133, v135
	v_pk_add_f32 v[70:71], v[132:133], v[70:71]
	ds_write2_b64 v210, v[214:215], v[70:71] offset0:4 offset1:6
	v_pk_mul_f32 v[70:71], v[218:219], s[16:17]
	v_pk_mul_f32 v[226:227], v[226:227], s[44:45]
	v_pk_fma_f32 v[132:133], v[222:223], s[0:1], v[70:71] neg_lo:[1,0,0] neg_hi:[1,0,0]
	v_pk_fma_f32 v[214:215], v[68:69], s[0:1], v[70:71]
	v_pk_fma_f32 v[158:159], v[36:37], s[34:35], v[226:227] neg_lo:[1,0,0] neg_hi:[1,0,0]
	v_mov_b32_e32 v133, v215
	v_pk_add_f32 v[132:133], v[34:35], v[132:133]
	v_pk_fma_f32 v[160:161], v[36:37], s[34:35], v[226:227]
	v_pk_add_f32 v[132:133], v[138:139], v[132:133]
	v_pk_mul_f32 v[138:139], v[224:225], s[38:39]
	v_mov_b32_e32 v159, v161
	v_pk_fma_f32 v[142:143], v[188:189], s[28:29], v[138:139] neg_lo:[1,0,0] neg_hi:[1,0,0]
	v_pk_fma_f32 v[146:147], v[188:189], s[28:29], v[138:139]
	v_pk_fma_f32 v[70:71], v[68:69], s[0:1], v[70:71] neg_lo:[0,0,1] neg_hi:[0,0,1]
	v_mov_b32_e32 v143, v147
	v_pk_add_f32 v[132:133], v[142:143], v[132:133]
	v_pk_mul_f32 v[142:143], v[220:221], s[26:27]
	v_pk_mul_f32 v[220:221], v[220:221], s[20:21]
	v_pk_fma_f32 v[148:149], v[194:195], s[30:31], v[142:143] neg_lo:[1,0,0] neg_hi:[1,0,0]
	v_pk_fma_f32 v[152:153], v[194:195], s[30:31], v[142:143]
	v_pk_fma_f32 v[118:119], v[194:195], s[36:37], v[220:221]
	v_mov_b32_e32 v149, v153
	v_pk_add_f32 v[132:133], v[148:149], v[132:133]
	v_pk_mul_f32 v[148:149], v[216:217], s[20:21]
	v_pk_mul_f32 v[216:217], v[216:217], s[24:25]
	v_pk_fma_f32 v[154:155], v[202:203], s[36:37], v[148:149] neg_lo:[1,0,0] neg_hi:[1,0,0]
	v_pk_fma_f32 v[156:157], v[202:203], s[36:37], v[148:149]
	v_pk_fma_f32 v[144:145], v[202:203], s[14:15], v[216:217]
	v_mov_b32_e32 v155, v157
	v_pk_add_f32 v[132:133], v[154:155], v[132:133]
	v_pk_mul_f32 v[154:155], v[218:219], s[26:27]
	v_mov_b32_e32 v215, v71
	v_pk_fma_f32 v[218:219], v[222:223], s[30:31], v[154:155] neg_lo:[1,0,0] neg_hi:[1,0,0]
	v_pk_fma_f32 v[222:223], v[68:69], s[30:31], v[154:155]
	v_pk_fma_f32 v[70:71], v[36:37], s[22:23], v[136:137] neg_lo:[0,0,1] neg_hi:[0,0,1]
	v_mov_b32_e32 v219, v223
	v_pk_add_f32 v[218:219], v[34:35], v[218:219]
	v_mov_b32_e32 v141, v71
	v_pk_add_f32 v[158:159], v[158:159], v[218:219]
	v_pk_mul_f32 v[218:219], v[224:225], s[16:17]
	v_pk_add_f32 v[70:71], v[34:35], v[214:215]
	v_pk_fma_f32 v[224:225], v[188:189], s[0:1], v[218:219] neg_lo:[1,0,0] neg_hi:[1,0,0]
	v_pk_fma_f32 v[162:163], v[188:189], s[0:1], v[218:219]
	v_pk_add_f32 v[70:71], v[140:141], v[70:71]
	v_mov_b32_e32 v225, v163
	v_pk_add_f32 v[158:159], v[224:225], v[158:159]
	v_pk_fma_f32 v[224:225], v[194:195], s[36:37], v[220:221] neg_lo:[1,0,0] neg_hi:[1,0,0]
	v_mov_b32_e32 v103, v117
	v_mov_b32_e32 v225, v119
	v_pk_add_f32 v[158:159], v[224:225], v[158:159]
	v_pk_fma_f32 v[224:225], v[202:203], s[14:15], v[216:217] neg_lo:[1,0,0] neg_hi:[1,0,0]
	v_mov_b32_e32 v123, v125
	v_mov_b32_e32 v225, v145
	v_pk_add_f32 v[158:159], v[224:225], v[158:159]
	ds_write2_b64 v210, v[132:133], v[158:159] offset0:8 offset1:10
	v_pk_fma_f32 v[132:133], v[68:69], s[30:31], v[154:155] neg_lo:[0,0,1] neg_hi:[0,0,1]
	v_pk_fma_f32 v[154:155], v[188:189], s[0:1], v[218:219] neg_lo:[0,0,1] neg_hi:[0,0,1]
	v_mov_b32_e32 v223, v133
	v_pk_fma_f32 v[132:133], v[36:37], s[34:35], v[226:227] neg_lo:[0,0,1] neg_hi:[0,0,1]
	v_mov_b32_e32 v163, v155
	v_mov_b32_e32 v161, v133
	v_pk_add_f32 v[132:133], v[34:35], v[222:223]
	v_pk_fma_f32 v[154:155], v[194:195], s[36:37], v[220:221] neg_lo:[0,0,1] neg_hi:[0,0,1]
	v_pk_add_f32 v[132:133], v[160:161], v[132:133]
	v_mov_b32_e32 v119, v155
	v_pk_add_f32 v[132:133], v[162:163], v[132:133]
	v_mov_b32_e32 v131, v129
	v_pk_add_f32 v[118:119], v[118:119], v[132:133]
	v_pk_fma_f32 v[132:133], v[202:203], s[14:15], v[216:217] neg_lo:[0,0,1] neg_hi:[0,0,1]
	v_mov_b32_e32 v177, v165
	v_mov_b32_e32 v145, v133
	v_pk_fma_f32 v[132:133], v[188:189], s[28:29], v[138:139] neg_lo:[0,0,1] neg_hi:[0,0,1]
	v_pk_add_f32 v[118:119], v[144:145], v[118:119]
	v_mov_b32_e32 v147, v133
	v_pk_fma_f32 v[132:133], v[194:195], s[30:31], v[142:143] neg_lo:[0,0,1] neg_hi:[0,0,1]
	v_pk_add_f32 v[70:71], v[146:147], v[70:71]
	;; [unrolled: 3-line block ×3, first 2 shown]
	v_mov_b32_e32 v157, v133
	v_pk_add_f32 v[70:71], v[156:157], v[70:71]
	ds_write2_b64 v210, v[118:119], v[70:71] offset0:12 offset1:14
	v_pk_fma_f32 v[70:71], v[68:69], s[14:15], v[244:245] neg_lo:[0,0,1] neg_hi:[0,0,1]
	v_pk_fma_f32 v[118:119], v[188:189], s[36:37], v[254:255] neg_lo:[0,0,1] neg_hi:[0,0,1]
	v_mov_b32_e32 v251, v71
	v_pk_fma_f32 v[70:71], v[36:37], s[18:19], v[252:253] neg_lo:[0,0,1] neg_hi:[0,0,1]
	v_mov_b32_e32 v105, v119
	v_mov_b32_e32 v209, v71
	v_pk_add_f32 v[70:71], v[34:35], v[250:251]
	v_mov_b32_e32 v126, v178
	v_pk_add_f32 v[70:71], v[208:209], v[70:71]
	;; [unrolled: 2-line block ×3, first 2 shown]
	v_pk_fma_f32 v[104:105], v[194:195], s[28:29], v[248:249] neg_lo:[0,0,1] neg_hi:[0,0,1]
	v_add_u32_e32 v118, 0x1340, v39
	v_mov_b32_e32 v113, v105
	v_pk_fma_f32 v[104:105], v[202:203], s[0:1], v[108:109] neg_lo:[0,0,1] neg_hi:[0,0,1]
	v_pk_fma_f32 v[108:109], v[188:189], s[18:19], v[232:233] neg_lo:[0,0,1] neg_hi:[0,0,1]
	v_mov_b32_e32 v135, v105
	v_pk_fma_f32 v[104:105], v[68:69], s[12:13], v[212:213] neg_lo:[0,0,1] neg_hi:[0,0,1]
	v_mov_b32_e32 v239, v109
	v_mov_b32_e32 v229, v105
	v_pk_fma_f32 v[104:105], v[36:37], s[0:1], v[230:231] neg_lo:[0,0,1] neg_hi:[0,0,1]
	v_pk_fma_f32 v[108:109], v[194:195], s[22:23], v[236:237] neg_lo:[0,0,1] neg_hi:[0,0,1]
	v_mov_b32_e32 v235, v105
	v_pk_add_f32 v[104:105], v[34:35], v[228:229]
	v_mov_b32_e32 v243, v109
	v_pk_add_f32 v[104:105], v[234:235], v[104:105]
	v_pk_fma_f32 v[108:109], v[202:203], s[34:35], v[240:241] neg_lo:[0,0,1] neg_hi:[0,0,1]
	v_pk_add_f32 v[104:105], v[238:239], v[104:105]
	v_pk_add_f32 v[70:71], v[112:113], v[70:71]
	;; [unrolled: 1-line block ×3, first 2 shown]
	v_mov_b32_e32 v247, v109
	v_pk_fma_f32 v[68:69], v[68:69], s[28:29], v[196:197] neg_lo:[0,0,1] neg_hi:[0,0,1]
	v_pk_add_f32 v[70:71], v[134:135], v[70:71]
	v_pk_add_f32 v[104:105], v[246:247], v[104:105]
	v_mov_b32_e32 v175, v69
	v_mov_b32_e32 v68, v44
	v_mov_b32_e32 v69, v187
	ds_write2_b64 v210, v[70:71], v[104:105] offset0:16 offset1:18
	v_pk_add_f32 v[68:69], v[32:33], v[68:69]
	v_mov_b32_e32 v70, v46
	v_mov_b32_e32 v71, v185
	v_pk_add_f32 v[68:69], v[70:71], v[68:69]
	v_mov_b32_e32 v70, v48
	v_mov_b32_e32 v71, v63
	;; [unrolled: 3-line block ×4, first 2 shown]
	v_pk_fma_f32 v[36:37], v[36:37], s[12:13], v[182:183] neg_lo:[0,0,1] neg_hi:[0,0,1]
	v_pk_add_f32 v[34:35], v[34:35], v[174:175]
	v_pk_add_f32 v[174:175], v[70:71], v[68:69]
	;; [unrolled: 1-line block ×3, first 2 shown]
	v_mov_b32_e32 v181, v37
	v_pk_fma_f32 v[36:37], v[188:189], s[14:15], v[192:193] neg_lo:[0,0,1] neg_hi:[0,0,1]
	v_pk_add_f32 v[68:69], v[122:123], v[68:69]
	v_pk_add_f32 v[34:35], v[180:181], v[34:35]
	v_mov_b32_e32 v191, v37
	v_pk_fma_f32 v[36:37], v[194:195], s[0:1], v[200:201] neg_lo:[0,0,1] neg_hi:[0,0,1]
	v_pk_add_f32 v[68:69], v[130:131], v[68:69]
	v_pk_add_f32 v[34:35], v[190:191], v[34:35]
	;; [unrolled: 4-line block ×3, first 2 shown]
	v_mov_b32_e32 v205, v37
	v_pk_add_f32 v[34:35], v[204:205], v[34:35]
	v_add_u32_e32 v123, 0x9a0, v39
	v_add_u32_e32 v122, 0xe70, v39
	;; [unrolled: 1-line block ×4, first 2 shown]
	v_pk_add_f32 v[102:103], v[126:127], v[68:69]
	v_lshrrev_b32_e32 v188, 1, v38
	v_mov_b32_e32 v176, v73
	v_mov_b32_e32 v180, v77
	;; [unrolled: 1-line block ×5, first 2 shown]
	ds_write_b64 v210, v[34:35] offset:160
	s_and_saveexec_b64 s[0:1], vcc
	s_cbranch_execz .LBB0_5
; %bb.4:
	v_mul_u32_u24_e32 v34, 22, v188
	v_accvgpr_read_b32 v35, a28
	v_or_b32_e32 v34, v34, v35
	v_lshl_add_u32 v39, v34, 3, v209
	v_pk_add_f32 v[34:35], v[32:33], v[64:65]
	v_mov_b32_e32 v187, v45
	v_pk_add_f32 v[34:35], v[34:35], v[84:85]
	v_accvgpr_read_b32 v115, a37
	v_pk_add_f32 v[34:35], v[34:35], v[86:87]
	v_pk_add_f32 v[36:37], v[32:33], v[186:187]
	;; [unrolled: 1-line block ×3, first 2 shown]
	v_mov_b32_e32 v185, v47
	v_pk_add_f32 v[34:35], v[34:35], v[88:89]
	v_pk_add_f32 v[32:33], v[32:33], v[114:115]
	;; [unrolled: 1-line block ×3, first 2 shown]
	v_accvgpr_read_b32 v111, a35
	v_pk_add_f32 v[34:35], v[34:35], v[92:93]
	v_pk_add_f32 v[36:37], v[184:185], v[36:37]
	v_mov_b32_e32 v63, v49
	v_pk_add_f32 v[32:33], v[110:111], v[32:33]
	v_accvgpr_read_b32 v107, a33
	v_pk_add_f32 v[34:35], v[34:35], v[94:95]
	v_pk_add_f32 v[36:37], v[62:63], v[36:37]
	v_mov_b32_e32 v61, v51
	v_pk_add_f32 v[32:33], v[106:107], v[32:33]
	;; [unrolled: 5-line block ×3, first 2 shown]
	v_accvgpr_read_b32 v121, a39
	v_pk_add_f32 v[34:35], v[34:35], v[98:99]
	v_pk_add_f32 v[36:37], v[58:59], v[36:37]
	;; [unrolled: 1-line block ×3, first 2 shown]
	ds_write2_b64 v39, v[34:35], v[36:37] offset1:2
	ds_write2_b64 v39, v[32:33], v[102:103] offset0:4 offset1:6
	ds_write2_b64 v39, v[24:25], v[26:27] offset0:8 offset1:10
	;; [unrolled: 1-line block ×4, first 2 shown]
	ds_write_b64 v39, v[174:175] offset:160
.LBB0_5:
	s_or_b64 exec, exec, s[0:1]
	v_mov_b32_e32 v208, v116
	v_lshrrev_b16_e32 v32, 1, v208
	v_and_b32_e32 v32, 0x7f, v32
	v_mul_lo_u16_e32 v32, 0xbb, v32
	v_lshrrev_b16_e32 v41, 11, v32
	v_mul_lo_u16_e32 v32, 22, v41
	v_sub_u16_e32 v32, v208, v32
	v_and_b32_e32 v55, 0xff, v32
	v_mad_u64_u32 v[32:33], s[0:1], v55, 48, s[10:11]
	s_waitcnt lgkmcnt(0)
	s_barrier
	global_load_dwordx4 v[44:47], v[32:33], off offset:192
	global_load_dwordx4 v[56:59], v[32:33], off offset:176
	;; [unrolled: 1-line block ×3, first 2 shown]
	v_lshrrev_b16_e32 v32, 1, v38
	v_and_b32_e32 v32, 0x7f, v32
	v_mul_lo_u16_e32 v32, 0xbb, v32
	v_lshrrev_b16_e32 v73, 11, v32
	v_mul_lo_u16_e32 v32, 22, v73
	v_sub_u16_e32 v32, v38, v32
	v_and_b32_e32 v75, 0xff, v32
	v_mad_u64_u32 v[32:33], s[0:1], v75, 48, s[10:11]
	global_load_dwordx4 v[68:71], v[32:33], off offset:176
	global_load_dwordx4 v[36:39], v[32:33], off offset:160
	s_nop 0
	global_load_dwordx4 v[32:35], v[32:33], off offset:192
	v_add_u32_e32 v191, 0x800, v151
	v_add_u32_e32 v190, 0xc00, v151
	;; [unrolled: 1-line block ×4, first 2 shown]
	ds_read2_b64 v[60:63], v151 offset1:77
	ds_read2_b64 v[64:67], v151 offset0:154 offset1:231
	ds_read2_b64 v[84:87], v191 offset0:52 offset1:129
	;; [unrolled: 1-line block ×6, first 2 shown]
	v_mul_u32_u24_e32 v41, 0x9a, v41
	v_mul_u32_u24_e32 v73, 0x9a, v73
	s_waitcnt lgkmcnt(4)
	v_mov_b32_e32 v100, v87
	s_waitcnt lgkmcnt(2)
	v_mov_b32_e32 v101, v94
	;; [unrolled: 2-line block ×3, first 2 shown]
	v_mov_b32_e32 v109, v90
	v_add_u32_e32 v41, v41, v55
	v_add_u32_e32 v55, v73, v75
	v_lshl_add_u32 v185, v41, 3, v209
	s_mov_b32 s14, 0x3eae86e6
	v_lshl_add_u32 v184, v55, 3, v209
	s_mov_b32 s15, 0xbf08b237
	s_mov_b32 s20, 0x3d64c772
	;; [unrolled: 1-line block ×9, first 2 shown]
	s_waitcnt lgkmcnt(0)
	s_barrier
	s_mov_b32 s24, 0x3f5ff5aa
	s_mov_b32 s26, 0x3f3bfb3b
	v_lshl_add_u32 v186, v208, 3, v209
	v_mov_b32_e32 v165, v164
	v_mov_b32_e32 v81, v80
	;; [unrolled: 1-line block ×12, first 2 shown]
	s_waitcnt vmcnt(5)
	v_mul_f32_e32 v55, v97, v45
	s_waitcnt vmcnt(4)
	v_mul_f32_e32 v121, v93, v58
	v_mul_f32_e32 v125, v92, v59
	s_waitcnt vmcnt(3)
	v_mul_f32_e32 v41, v85, v51
	v_fma_f32 v110, v84, v50, -v41
	v_mov_b32_e32 v146, v50
	v_mov_b32_e32 v147, v58
	v_mul_f32_e32 v111, v89, v56
	v_mul_f32_e32 v115, v88, v57
	v_fma_f32 v114, v96, v44, -v55
	s_waitcnt vmcnt(2)
	v_mul_f32_e32 v127, v91, v68
	v_mul_f32_e32 v129, v90, v69
	;; [unrolled: 1-line block ×4, first 2 shown]
	s_waitcnt vmcnt(1)
	v_mul_f32_e32 v73, v87, v39
	s_waitcnt vmcnt(0)
	v_mul_f32_e32 v75, v99, v33
	v_mov_b32_e32 v87, v95
	v_mov_b32_e32 v94, v39
	;; [unrolled: 1-line block ×6, first 2 shown]
	v_pk_mul_f32 v[134:135], v[66:67], v[36:37] op_sel_hi:[1,0]
	v_mov_b32_e32 v136, v38
	v_mov_b32_e32 v137, v70
	;; [unrolled: 1-line block ×4, first 2 shown]
	v_pk_mul_f32 v[140:141], v[106:107], v[34:35] op_sel_hi:[1,0]
	v_mov_b32_e32 v116, v35
	v_fma_f32 v126, v86, v38, -v73
	v_pk_mul_f32 v[86:87], v[86:87], v[94:95]
	v_pk_mul_f32 v[90:91], v[98:99], v[90:91]
	v_fma_f32 v128, v98, v32, -v75
	v_pk_fma_f32 v[142:143], v[66:67], v[36:37], v[134:135] op_sel:[0,1,1] op_sel_hi:[1,1,0]
	v_pk_fma_f32 v[66:67], v[66:67], v[36:37], v[134:135] op_sel:[0,1,1] op_sel_hi:[1,1,0] neg_lo:[1,0,0] neg_hi:[1,0,0]
	v_pk_fma_f32 v[94:95], v[106:107], v[116:117], v[140:141] op_sel:[0,0,1] op_sel_hi:[1,0,0]
	v_pk_fma_f32 v[98:99], v[106:107], v[116:117], v[140:141] op_sel:[0,0,1] op_sel_hi:[1,0,0] neg_lo:[1,0,0] neg_hi:[1,0,0]
	v_pk_fma_f32 v[134:135], v[100:101], v[38:39], v[86:87]
	v_pk_fma_f32 v[86:87], v[100:101], v[136:137], v[86:87] neg_lo:[0,0,1] neg_hi:[0,0,1]
	v_pk_fma_f32 v[100:101], v[108:109], v[32:33], v[90:91]
	v_pk_fma_f32 v[90:91], v[108:109], v[138:139], v[90:91] neg_lo:[0,0,1] neg_hi:[0,0,1]
	v_mov_b32_e32 v143, v67
	v_mov_b32_e32 v95, v99
	;; [unrolled: 1-line block ×6, first 2 shown]
	v_pk_add_f32 v[106:107], v[126:127], v[128:129]
	v_pk_add_f32 v[108:109], v[142:143], v[94:95]
	v_pk_add_f32 v[94:95], v[142:143], v[94:95] neg_lo:[0,1] neg_hi:[0,1]
	v_pk_add_f32 v[136:137], v[134:135], v[100:101]
	v_pk_add_f32 v[66:67], v[130:131], v[132:133]
	v_pk_mul_f32 v[142:143], v[64:65], v[48:49] op_sel_hi:[1,0]
	v_mov_b32_e32 v98, v67
	v_mov_b32_e32 v99, v126
	;; [unrolled: 1-line block ×8, first 2 shown]
	v_pk_fma_f32 v[144:145], v[64:65], v[48:49], v[142:143] op_sel:[0,1,1] op_sel_hi:[1,1,0]
	v_pk_fma_f32 v[64:65], v[64:65], v[48:49], v[142:143] op_sel:[0,1,1] op_sel_hi:[1,1,0] neg_lo:[1,0,0] neg_hi:[1,0,0]
	v_mov_b32_e32 v142, v85
	v_mov_b32_e32 v143, v92
	;; [unrolled: 1-line block ×5, first 2 shown]
	v_pk_add_f32 v[100:101], v[134:135], v[100:101] neg_lo:[0,1] neg_hi:[0,1]
	v_pk_add_f32 v[98:99], v[98:99], v[126:127] neg_lo:[0,1] neg_hi:[0,1]
	v_pk_add_f32 v[134:135], v[106:107], v[66:67]
	v_pk_add_f32 v[86:87], v[90:91], v[86:87]
	v_pk_mul_f32 v[84:85], v[84:85], v[92:93]
	v_mov_b32_e32 v130, v98
	v_mov_b32_e32 v131, v95
	;; [unrolled: 1-line block ×5, first 2 shown]
	v_pk_fma_f32 v[92:93], v[142:143], v[50:51], v[84:85]
	v_pk_fma_f32 v[84:85], v[142:143], v[146:147], v[84:85] neg_lo:[0,0,1] neg_hi:[0,0,1]
	v_mov_b32_e32 v142, v97
	v_mov_b32_e32 v143, v88
	;; [unrolled: 1-line block ×7, first 2 shown]
	v_pk_add_f32 v[130:131], v[130:131], v[100:101] neg_lo:[0,1] neg_hi:[0,1]
	v_pk_add_f32 v[90:91], v[90:91], v[106:107] neg_lo:[0,1] neg_hi:[0,1]
	v_mov_b32_e32 v67, v135
	v_mov_b32_e32 v138, v86
	;; [unrolled: 1-line block ×3, first 2 shown]
	v_pk_add_f32 v[86:87], v[134:135], v[86:87]
	v_mov_b32_e32 v146, v44
	v_mov_b32_e32 v147, v56
	v_pk_mul_f32 v[88:89], v[96:97], v[88:89]
	v_pk_add_f32 v[126:127], v[126:127], v[98:99] neg_lo:[0,1] neg_hi:[0,1]
	v_pk_mul_f32 v[130:131], v[130:131], s[16:17]
	v_pk_add_f32 v[132:133], v[100:101], v[98:99]
	v_pk_add_f32 v[138:139], v[66:67], v[138:139] neg_lo:[0,1] neg_hi:[0,1]
	v_pk_add_f32 v[62:63], v[62:63], v[86:87]
	v_pk_mul_f32 v[90:91], v[90:91], s[20:21]
	v_pk_fma_f32 v[96:97], v[142:143], v[44:45], v[88:89]
	v_pk_fma_f32 v[88:89], v[142:143], v[146:147], v[88:89] neg_lo:[0,0,1] neg_hi:[0,0,1]
	v_pk_mul_f32 v[142:143], v[104:105], v[46:47] op_sel_hi:[1,0]
	v_mov_b32_e32 v64, v47
	v_pk_mul_f32 v[128:129], v[126:127], s[14:15]
	v_pk_add_f32 v[132:133], v[132:133], v[94:95]
	v_pk_mul_f32 v[134:135], v[138:139], s[22:23]
	v_pk_fma_f32 v[86:87], v[86:87], s[18:19], v[62:63] op_sel_hi:[1,0,1] neg_lo:[1,0,0] neg_hi:[1,0,0]
	v_pk_fma_f32 v[138:139], v[138:139], s[22:23], v[90:91]
	v_pk_fma_f32 v[126:127], v[126:127], s[14:15], v[130:131]
	v_pk_fma_f32 v[146:147], v[104:105], v[64:65], v[142:143] op_sel:[0,0,1] op_sel_hi:[1,0,0]
	v_pk_fma_f32 v[104:105], v[104:105], v[64:65], v[142:143] op_sel:[0,0,1] op_sel_hi:[1,0,0] neg_lo:[1,0,0] neg_hi:[1,0,0]
	v_pk_add_f32 v[138:139], v[138:139], v[86:87]
	v_pk_fma_f32 v[126:127], v[132:133], s[12:13], v[126:127] op_sel_hi:[1,0,1]
	v_mov_b32_e32 v145, v65
	v_mov_b32_e32 v93, v85
	;; [unrolled: 1-line block ×6, first 2 shown]
	v_pk_add_f32 v[140:141], v[138:139], v[126:127]
	v_pk_add_f32 v[126:127], v[138:139], v[126:127] neg_lo:[0,1] neg_hi:[0,1]
	v_pk_add_f32 v[138:139], v[110:111], v[114:115]
	v_pk_add_f32 v[142:143], v[144:145], v[146:147]
	v_pk_add_f32 v[144:145], v[144:145], v[146:147] neg_lo:[0,1] neg_hi:[0,1]
	v_pk_add_f32 v[146:147], v[92:93], v[96:97]
	v_pk_add_f32 v[64:65], v[120:121], v[124:125]
	v_pk_add_f32 v[92:93], v[92:93], v[96:97] neg_lo:[0,1] neg_hi:[0,1]
	v_mov_b32_e32 v96, v65
	v_mov_b32_e32 v97, v110
	;; [unrolled: 1-line block ×8, first 2 shown]
	v_pk_add_f32 v[96:97], v[96:97], v[104:105] neg_lo:[0,1] neg_hi:[0,1]
	v_pk_add_f32 v[124:125], v[138:139], v[64:65]
	v_pk_add_f32 v[84:85], v[88:89], v[84:85]
	v_mov_b32_e32 v114, v96
	v_mov_b32_e32 v115, v145
	;; [unrolled: 1-line block ×7, first 2 shown]
	v_pk_add_f32 v[114:115], v[114:115], v[92:93] neg_lo:[0,1] neg_hi:[0,1]
	v_pk_add_f32 v[88:89], v[88:89], v[138:139] neg_lo:[0,1] neg_hi:[0,1]
	v_mov_b32_e32 v65, v125
	v_mov_b32_e32 v148, v84
	;; [unrolled: 1-line block ×3, first 2 shown]
	v_pk_add_f32 v[84:85], v[124:125], v[84:85]
	v_pk_add_f32 v[104:105], v[104:105], v[96:97] neg_lo:[0,1] neg_hi:[0,1]
	v_pk_mul_f32 v[114:115], v[114:115], s[16:17]
	v_pk_add_f32 v[120:121], v[92:93], v[96:97]
	v_pk_add_f32 v[148:149], v[64:65], v[148:149] neg_lo:[0,1] neg_hi:[0,1]
	v_pk_add_f32 v[60:61], v[60:61], v[84:85]
	v_pk_mul_f32 v[88:89], v[88:89], s[20:21]
	v_pk_mul_f32 v[110:111], v[104:105], s[14:15]
	v_pk_add_f32 v[120:121], v[120:121], v[144:145]
	v_pk_mul_f32 v[124:125], v[148:149], s[22:23]
	v_pk_fma_f32 v[84:85], v[84:85], s[18:19], v[60:61] op_sel_hi:[1,0,1] neg_lo:[1,0,0] neg_hi:[1,0,0]
	v_pk_fma_f32 v[148:149], v[148:149], s[22:23], v[88:89]
	v_pk_fma_f32 v[104:105], v[104:105], s[14:15], v[114:115]
	v_pk_add_f32 v[148:149], v[148:149], v[84:85]
	v_pk_fma_f32 v[104:105], v[120:121], s[12:13], v[104:105] op_sel_hi:[1,0,1]
	v_mov_b32_e32 v93, v97
	v_pk_add_f32 v[152:153], v[148:149], v[104:105]
	v_pk_add_f32 v[104:105], v[148:149], v[104:105] neg_lo:[0,1] neg_hi:[0,1]
	v_mov_b32_e32 v148, v152
	v_mov_b32_e32 v149, v105
	;; [unrolled: 1-line block ×4, first 2 shown]
	ds_write2_b64 v185, v[60:61], v[148:149] offset1:22
	v_pk_add_f32 v[60:61], v[92:93], v[144:145] neg_lo:[0,1] neg_hi:[0,1]
	v_pk_add_f32 v[64:65], v[138:139], v[64:65] neg_lo:[0,1] neg_hi:[0,1]
	v_mov_b32_e32 v92, v124
	v_mov_b32_e32 v93, v89
	;; [unrolled: 1-line block ×6, first 2 shown]
	v_pk_fma_f32 v[92:93], v[64:65], s[26:27], v[92:93] op_sel_hi:[1,0,1] neg_lo:[1,0,1] neg_hi:[1,0,1]
	v_pk_fma_f32 v[96:97], v[60:61], s[24:25], v[96:97] op_sel_hi:[1,0,1] neg_lo:[1,0,1] neg_hi:[1,0,1]
	;; [unrolled: 1-line block ×4, first 2 shown]
	v_pk_add_f32 v[92:93], v[92:93], v[84:85]
	v_pk_fma_f32 v[96:97], v[120:121], s[12:13], v[96:97] op_sel_hi:[1,0,1]
	v_pk_add_f32 v[64:65], v[64:65], v[84:85]
	v_pk_fma_f32 v[60:61], v[120:121], s[12:13], v[60:61] op_sel_hi:[1,0,1]
	v_pk_add_f32 v[138:139], v[92:93], v[96:97]
	v_pk_add_f32 v[92:93], v[92:93], v[96:97] neg_lo:[0,1] neg_hi:[0,1]
	v_pk_add_f32 v[84:85], v[64:65], v[60:61] neg_lo:[0,1] neg_hi:[0,1]
	v_pk_add_f32 v[60:61], v[64:65], v[60:61]
	v_mov_b32_e32 v97, v93
	v_mov_b32_e32 v65, v61
	v_mov_b32_e32 v61, v85
	v_mov_b32_e32 v93, v139
	v_mov_b32_e32 v96, v138
	v_mov_b32_e32 v64, v84
	ds_write2_b64 v185, v[60:61], v[92:93] offset0:88 offset1:110
	v_mov_b32_e32 v105, v153
	v_mov_b32_e32 v60, v140
	;; [unrolled: 1-line block ×6, first 2 shown]
	ds_write2_b64 v185, v[96:97], v[64:65] offset0:44 offset1:66
	ds_write_b64 v185, v[104:105] offset:1056
	ds_write2_b64 v184, v[62:63], v[60:61] offset1:22
	v_pk_add_f32 v[60:61], v[100:101], v[94:95] neg_lo:[0,1] neg_hi:[0,1]
	v_pk_add_f32 v[62:63], v[106:107], v[66:67] neg_lo:[0,1] neg_hi:[0,1]
	v_mov_b32_e32 v64, v134
	v_mov_b32_e32 v65, v91
	;; [unrolled: 1-line block ×6, first 2 shown]
	v_pk_fma_f32 v[64:65], v[62:63], s[26:27], v[64:65] op_sel_hi:[1,0,1] neg_lo:[1,0,1] neg_hi:[1,0,1]
	v_pk_fma_f32 v[66:67], v[60:61], s[24:25], v[66:67] op_sel_hi:[1,0,1] neg_lo:[1,0,1] neg_hi:[1,0,1]
	;; [unrolled: 1-line block ×4, first 2 shown]
	v_pk_add_f32 v[64:65], v[64:65], v[86:87]
	v_pk_fma_f32 v[66:67], v[132:133], s[12:13], v[66:67] op_sel_hi:[1,0,1]
	v_pk_add_f32 v[62:63], v[62:63], v[86:87]
	v_pk_fma_f32 v[60:61], v[132:133], s[12:13], v[60:61] op_sel_hi:[1,0,1]
	v_pk_add_f32 v[84:85], v[64:65], v[66:67]
	v_pk_add_f32 v[64:65], v[64:65], v[66:67] neg_lo:[0,1] neg_hi:[0,1]
	v_pk_add_f32 v[86:87], v[62:63], v[60:61] neg_lo:[0,1] neg_hi:[0,1]
	v_pk_add_f32 v[60:61], v[62:63], v[60:61]
	v_mov_b32_e32 v67, v65
	v_mov_b32_e32 v63, v61
	;; [unrolled: 1-line block ×6, first 2 shown]
	ds_write2_b64 v184, v[60:61], v[64:65] offset0:88 offset1:110
	v_mov_b32_e32 v127, v141
	v_mad_u64_u32 v[60:61], s[0:1], v208, 48, s[10:11]
	ds_write2_b64 v184, v[66:67], v[62:63] offset0:44 offset1:66
	ds_write_b64 v184, v[126:127] offset:1056
	s_waitcnt lgkmcnt(0)
	s_barrier
	global_load_dwordx4 v[92:95], v[60:61], off offset:1232
	global_load_dwordx4 v[84:87], v[60:61], off offset:1216
	s_mov_b64 s[0:1], 0x1330
	v_lshl_add_u64 v[62:63], v[60:61], 0, s[0:1]
	global_load_dwordx4 v[88:91], v[60:61], off offset:1248
	global_load_dwordx4 v[96:99], v[62:63], off offset:16
	s_movk_i32 s10, 0x1000
	v_add_co_u32_e64 v60, s[0:1], s10, v60
	v_lshlrev_b32_e32 v116, 3, v208
	s_nop 0
	v_addc_co_u32_e64 v61, s[0:1], 0, v61, s[0:1]
	global_load_dwordx4 v[64:67], v[60:61], off offset:816
	s_nop 0
	global_load_dwordx4 v[60:63], v[62:63], off offset:32
	ds_read2_b64 v[104:107], v190 offset0:78 offset1:155
	v_lshl_add_u64 v[100:101], s[8:9], 0, v[116:117]
	ds_read2_b64 v[108:111], v189 offset0:104 offset1:181
	ds_read2_b64 v[114:117], v191 offset0:52 offset1:129
	;; [unrolled: 1-line block ×3, first 2 shown]
	ds_read2_b64 v[128:131], v151 offset1:77
	ds_read2_b64 v[192:195], v151 offset0:154 offset1:231
	ds_read2_b64 v[196:199], v187 offset0:156 offset1:233
	s_waitcnt lgkmcnt(5)
	v_mov_b32_e32 v157, v108
	s_waitcnt lgkmcnt(4)
	v_mov_b32_e32 v156, v115
	v_add_u32_e32 v55, 0x1200, v186
	s_movk_i32 s0, 0x2000
	v_mov_b32_e32 v73, v72
	s_waitcnt vmcnt(5)
	v_mul_f32_e32 v135, v109, v94
	v_mul_f32_e32 v137, v108, v95
	s_waitcnt vmcnt(4)
	v_mul_f32_e32 v41, v115, v87
	v_mov_b32_e32 v115, v109
	v_mov_b32_e32 v108, v87
	;; [unrolled: 1-line block ×5, first 2 shown]
	v_pk_mul_f32 v[108:109], v[114:115], v[108:109]
	v_mul_f32_e32 v121, v105, v92
	v_mul_f32_e32 v133, v104, v93
	v_fma_f32 v120, v114, v86, -v41
	s_waitcnt vmcnt(3) lgkmcnt(3)
	v_mul_f32_e32 v41, v125, v89
	v_pk_fma_f32 v[114:115], v[156:157], v[86:87], v[108:109]
	v_pk_fma_f32 v[108:109], v[156:157], v[158:159], v[108:109] neg_lo:[0,0,1] neg_hi:[0,0,1]
	v_mov_b32_e32 v156, v125
	v_mov_b32_e32 v157, v104
	;; [unrolled: 1-line block ×7, first 2 shown]
	v_pk_mul_f32 v[104:105], v[124:125], v[104:105]
	v_fma_f32 v132, v124, v88, -v41
	v_pk_fma_f32 v[124:125], v[156:157], v[88:89], v[104:105]
	v_pk_fma_f32 v[104:105], v[156:157], v[158:159], v[104:105] neg_lo:[0,0,1] neg_hi:[0,0,1]
	s_waitcnt lgkmcnt(1)
	v_pk_mul_f32 v[152:153], v[192:193], v[84:85] op_sel_hi:[1,0]
	s_waitcnt lgkmcnt(0)
	v_pk_mul_f32 v[156:157], v[196:197], v[90:91] op_sel_hi:[1,0]
	v_mov_b32_e32 v104, v91
	v_pk_fma_f32 v[154:155], v[192:193], v[84:85], v[152:153] op_sel:[0,1,1] op_sel_hi:[1,1,0]
	v_pk_fma_f32 v[152:153], v[192:193], v[84:85], v[152:153] op_sel:[0,1,1] op_sel_hi:[1,1,0] neg_lo:[1,0,0] neg_hi:[1,0,0]
	v_pk_fma_f32 v[158:159], v[196:197], v[104:105], v[156:157] op_sel:[0,0,1] op_sel_hi:[1,0,0]
	v_pk_fma_f32 v[156:157], v[196:197], v[104:105], v[156:157] op_sel:[0,0,1] op_sel_hi:[1,0,0] neg_lo:[1,0,0] neg_hi:[1,0,0]
	v_mov_b32_e32 v155, v153
	v_mov_b32_e32 v115, v109
	;; [unrolled: 1-line block ×6, first 2 shown]
	v_pk_add_f32 v[146:147], v[120:121], v[132:133]
	v_pk_add_f32 v[160:161], v[154:155], v[158:159]
	v_pk_add_f32 v[154:155], v[154:155], v[158:159] neg_lo:[0,1] neg_hi:[0,1]
	v_pk_add_f32 v[158:159], v[114:115], v[124:125]
	v_pk_add_f32 v[114:115], v[114:115], v[124:125] neg_lo:[0,1] neg_hi:[0,1]
	v_pk_add_f32 v[124:125], v[134:135], v[136:137]
	v_mov_b32_e32 v135, v120
	v_mov_b32_e32 v134, v125
	;; [unrolled: 1-line block ×8, first 2 shown]
	v_pk_add_f32 v[120:121], v[134:135], v[120:121] neg_lo:[0,1] neg_hi:[0,1]
	v_pk_add_f32 v[156:157], v[146:147], v[124:125]
	v_pk_add_f32 v[104:105], v[104:105], v[108:109]
	v_mov_b32_e32 v136, v120
	v_mov_b32_e32 v137, v155
	;; [unrolled: 1-line block ×6, first 2 shown]
	v_pk_add_f32 v[136:137], v[136:137], v[114:115] neg_lo:[0,1] neg_hi:[0,1]
	v_pk_add_f32 v[108:109], v[108:109], v[146:147] neg_lo:[0,1] neg_hi:[0,1]
	v_mov_b32_e32 v125, v157
	v_mov_b32_e32 v162, v104
	;; [unrolled: 1-line block ×3, first 2 shown]
	v_pk_add_f32 v[104:105], v[156:157], v[104:105]
	v_pk_add_f32 v[132:133], v[132:133], v[120:121] neg_lo:[0,1] neg_hi:[0,1]
	v_pk_mul_f32 v[136:137], v[136:137], s[16:17]
	v_pk_add_f32 v[152:153], v[114:115], v[120:121]
	v_pk_add_f32 v[162:163], v[124:125], v[162:163] neg_lo:[0,1] neg_hi:[0,1]
	v_pk_add_f32 v[128:129], v[128:129], v[104:105]
	v_pk_mul_f32 v[108:109], v[108:109], s[20:21]
	v_pk_mul_f32 v[134:135], v[132:133], s[14:15]
	v_pk_add_f32 v[152:153], v[152:153], v[154:155]
	v_pk_mul_f32 v[156:157], v[162:163], s[22:23]
	v_pk_fma_f32 v[104:105], v[104:105], s[18:19], v[128:129] op_sel_hi:[1,0,1] neg_lo:[1,0,0] neg_hi:[1,0,0]
	v_pk_fma_f32 v[162:163], v[162:163], s[22:23], v[108:109]
	v_pk_fma_f32 v[132:133], v[132:133], s[14:15], v[136:137]
	v_pk_add_f32 v[162:163], v[162:163], v[104:105]
	v_pk_fma_f32 v[132:133], v[152:153], s[12:13], v[132:133] op_sel_hi:[1,0,1]
	s_waitcnt vmcnt(2)
	v_mul_f32_e32 v143, v111, v98
	v_pk_add_f32 v[192:193], v[162:163], v[132:133]
	v_pk_add_f32 v[132:133], v[162:163], v[132:133] neg_lo:[0,1] neg_hi:[0,1]
	s_waitcnt vmcnt(1)
	v_pk_mul_f32 v[162:163], v[194:195], v[64:65] op_sel_hi:[1,0]
	v_mul_f32_e32 v145, v110, v99
	v_mul_f32_e32 v41, v117, v67
	v_pk_fma_f32 v[196:197], v[194:195], v[64:65], v[162:163] op_sel:[0,1,1] op_sel_hi:[1,1,0]
	v_pk_fma_f32 v[162:163], v[194:195], v[64:65], v[162:163] op_sel:[0,1,1] op_sel_hi:[1,1,0] neg_lo:[1,0,0] neg_hi:[1,0,0]
	v_mov_b32_e32 v194, v117
	v_mov_b32_e32 v195, v110
	;; [unrolled: 1-line block ×7, first 2 shown]
	v_pk_mul_f32 v[110:111], v[116:117], v[110:111]
	v_mul_f32_e32 v139, v107, v96
	v_mul_f32_e32 v141, v106, v97
	v_fma_f32 v138, v116, v66, -v41
	s_waitcnt vmcnt(0)
	v_mul_f32_e32 v41, v127, v61
	v_pk_fma_f32 v[116:117], v[194:195], v[66:67], v[110:111]
	v_pk_fma_f32 v[110:111], v[194:195], v[200:201], v[110:111] neg_lo:[0,0,1] neg_hi:[0,0,1]
	v_mov_b32_e32 v194, v127
	v_mov_b32_e32 v195, v106
	;; [unrolled: 1-line block ×7, first 2 shown]
	v_pk_mul_f32 v[106:107], v[126:127], v[106:107]
	v_fma_f32 v140, v126, v60, -v41
	v_pk_fma_f32 v[126:127], v[194:195], v[60:61], v[106:107]
	v_pk_fma_f32 v[106:107], v[194:195], v[200:201], v[106:107] neg_lo:[0,0,1] neg_hi:[0,0,1]
	v_pk_mul_f32 v[194:195], v[198:199], v[62:63] op_sel_hi:[1,0]
	v_mov_b32_e32 v106, v63
	v_pk_fma_f32 v[200:201], v[198:199], v[106:107], v[194:195] op_sel:[0,0,1] op_sel_hi:[1,0,0]
	v_pk_fma_f32 v[194:195], v[198:199], v[106:107], v[194:195] op_sel:[0,0,1] op_sel_hi:[1,0,0] neg_lo:[1,0,0] neg_hi:[1,0,0]
	v_mov_b32_e32 v197, v163
	v_mov_b32_e32 v117, v111
	;; [unrolled: 1-line block ×6, first 2 shown]
	v_pk_add_f32 v[148:149], v[138:139], v[140:141]
	v_pk_add_f32 v[198:199], v[196:197], v[200:201]
	v_pk_add_f32 v[196:197], v[196:197], v[200:201] neg_lo:[0,1] neg_hi:[0,1]
	v_pk_add_f32 v[200:201], v[116:117], v[126:127]
	v_pk_add_f32 v[116:117], v[116:117], v[126:127] neg_lo:[0,1] neg_hi:[0,1]
	v_pk_add_f32 v[126:127], v[142:143], v[144:145]
	v_mov_b32_e32 v115, v121
	v_mov_b32_e32 v147, v158
	;; [unrolled: 1-line block ×11, first 2 shown]
	v_pk_add_f32 v[114:115], v[114:115], v[154:155] neg_lo:[0,1] neg_hi:[0,1]
	v_pk_add_f32 v[120:121], v[146:147], v[124:125] neg_lo:[0,1] neg_hi:[0,1]
	v_mov_b32_e32 v124, v156
	v_mov_b32_e32 v125, v109
	;; [unrolled: 1-line block ×6, first 2 shown]
	v_pk_add_f32 v[138:139], v[142:143], v[138:139] neg_lo:[0,1] neg_hi:[0,1]
	v_pk_add_f32 v[194:195], v[148:149], v[126:127]
	v_pk_add_f32 v[106:107], v[106:107], v[110:111]
	v_pk_fma_f32 v[124:125], v[120:121], s[26:27], v[124:125] op_sel_hi:[1,0,1] neg_lo:[1,0,1] neg_hi:[1,0,1]
	v_pk_fma_f32 v[146:147], v[114:115], s[24:25], v[146:147] op_sel_hi:[1,0,1] neg_lo:[1,0,1] neg_hi:[1,0,1]
	;; [unrolled: 1-line block ×4, first 2 shown]
	v_mov_b32_e32 v140, v196
	v_mov_b32_e32 v141, v117
	;; [unrolled: 1-line block ×9, first 2 shown]
	v_pk_add_f32 v[124:125], v[124:125], v[104:105]
	v_pk_add_f32 v[104:105], v[108:109], v[104:105]
	v_pk_fma_f32 v[108:109], v[152:153], s[12:13], v[114:115] op_sel_hi:[1,0,1]
	v_pk_add_f32 v[140:141], v[140:141], v[138:139] neg_lo:[0,1] neg_hi:[0,1]
	v_pk_add_f32 v[144:145], v[144:145], v[116:117] neg_lo:[0,1] neg_hi:[0,1]
	;; [unrolled: 1-line block ×4, first 2 shown]
	v_pk_add_f32 v[106:107], v[194:195], v[106:107]
	v_pk_add_f32 v[114:115], v[104:105], v[108:109] neg_lo:[0,1] neg_hi:[0,1]
	v_pk_add_f32 v[104:105], v[104:105], v[108:109]
	v_pk_mul_f32 v[142:143], v[140:141], s[14:15]
	v_pk_mul_f32 v[144:145], v[144:145], s[16:17]
	v_pk_add_f32 v[162:163], v[116:117], v[138:139]
	v_pk_add_f32 v[130:131], v[130:131], v[106:107]
	v_pk_mul_f32 v[110:111], v[110:111], s[20:21]
	v_pk_mul_f32 v[194:195], v[202:203], s[22:23]
	v_mov_b32_e32 v108, v114
	v_mov_b32_e32 v109, v105
	;; [unrolled: 1-line block ×5, first 2 shown]
	v_pk_add_f32 v[162:163], v[162:163], v[196:197]
	v_pk_fma_f32 v[106:107], v[106:107], s[18:19], v[130:131] op_sel_hi:[1,0,1] neg_lo:[1,0,0] neg_hi:[1,0,0]
	v_pk_fma_f32 v[202:203], v[202:203], s[22:23], v[110:111]
	v_pk_fma_f32 v[140:141], v[140:141], s[14:15], v[144:145]
	v_pk_fma_f32 v[146:147], v[152:153], s[12:13], v[146:147] op_sel_hi:[1,0,1]
	ds_write_b64 v151, v[108:109] offset:3696
	v_mov_b32_e32 v105, v115
	v_pk_add_f32 v[108:109], v[116:117], v[196:197] neg_lo:[0,1] neg_hi:[0,1]
	v_pk_add_f32 v[114:115], v[148:149], v[126:127] neg_lo:[0,1] neg_hi:[0,1]
	v_mov_b32_e32 v116, v194
	v_mov_b32_e32 v117, v111
	;; [unrolled: 1-line block ×4, first 2 shown]
	v_pk_add_f32 v[202:203], v[202:203], v[106:107]
	v_pk_fma_f32 v[140:141], v[162:163], s[12:13], v[140:141] op_sel_hi:[1,0,1]
	v_pk_add_f32 v[154:155], v[124:125], v[146:147]
	v_pk_add_f32 v[124:125], v[124:125], v[146:147] neg_lo:[0,1] neg_hi:[0,1]
	v_pk_fma_f32 v[116:117], v[114:115], s[26:27], v[116:117] op_sel_hi:[1,0,1] neg_lo:[1,0,1] neg_hi:[1,0,1]
	v_pk_fma_f32 v[120:121], v[108:109], s[24:25], v[120:121] op_sel_hi:[1,0,1] neg_lo:[1,0,1] neg_hi:[1,0,1]
	v_pk_add_f32 v[204:205], v[202:203], v[140:141]
	v_pk_add_f32 v[140:141], v[202:203], v[140:141] neg_lo:[0,1] neg_hi:[0,1]
	v_mov_b32_e32 v202, v192
	v_mov_b32_e32 v203, v133
	;; [unrolled: 1-line block ×4, first 2 shown]
	v_add_u32_e32 v41, 0x400, v151
	v_mov_b32_e32 v125, v155
	v_pk_add_f32 v[116:117], v[116:117], v[106:107]
	v_pk_fma_f32 v[120:121], v[162:163], s[12:13], v[120:121] op_sel_hi:[1,0,1]
	ds_write2_b64 v41, v[202:203], v[146:147] offset0:26 offset1:180
	ds_write2_b64 v55, v[104:105], v[124:125] offset0:40 offset1:194
	v_pk_add_f32 v[124:125], v[116:117], v[120:121]
	v_pk_add_f32 v[116:117], v[116:117], v[120:121] neg_lo:[0,1] neg_hi:[0,1]
	v_mov_b32_e32 v133, v193
	v_mov_b32_e32 v104, v204
	;; [unrolled: 1-line block ×5, first 2 shown]
	v_add_u32_e32 v55, 0x600, v151
	v_mov_b32_e32 v111, v195
	v_mov_b32_e32 v145, v143
	ds_write_b64 v186, v[132:133] offset:7392
	ds_write2_b64 v151, v[128:129], v[130:131] offset1:77
	ds_write2_b64 v55, v[104:105], v[120:121] offset0:39 offset1:193
	v_pk_fma_f32 v[104:105], v[114:115], s[26:27], v[110:111] op_sel_hi:[1,0,1] neg_lo:[0,0,1] neg_hi:[0,0,1]
	v_pk_fma_f32 v[108:109], v[108:109], s[24:25], v[144:145] op_sel_hi:[1,0,1] neg_lo:[0,0,1] neg_hi:[0,0,1]
	v_pk_add_f32 v[104:105], v[104:105], v[106:107]
	v_pk_fma_f32 v[106:107], v[162:163], s[12:13], v[108:109] op_sel_hi:[1,0,1]
	v_mov_b32_e32 v117, v125
	v_pk_add_f32 v[108:109], v[104:105], v[106:107] neg_lo:[0,1] neg_hi:[0,1]
	v_pk_add_f32 v[104:105], v[104:105], v[106:107]
	v_mov_b32_e32 v106, v108
	v_mov_b32_e32 v107, v105
	;; [unrolled: 1-line block ×3, first 2 shown]
	ds_write2_b64 v189, v[106:107], v[104:105] offset0:27 offset1:181
	v_add_co_u32_e64 v104, s[0:1], s0, v100
	v_mov_b32_e32 v141, v205
	s_nop 0
	v_addc_co_u32_e64 v105, s[0:1], 0, v101, s[0:1]
	s_movk_i32 s0, 0x3000
	ds_write2_b64 v187, v[116:117], v[140:141] offset0:79 offset1:233
	s_waitcnt lgkmcnt(0)
	s_barrier
	global_load_dwordx2 v[114:115], v[104:105], off offset:432
	v_add_co_u32_e64 v104, s[0:1], s0, v100
	v_mov_b32_e32 v55, v54
	s_nop 0
	v_addc_co_u32_e64 v105, s[0:1], 0, v101, s[0:1]
	global_load_dwordx2 v[116:117], v[104:105], off offset:648
	s_mov_b64 s[0:1], 0x21b0
	v_lshl_add_u64 v[106:107], v[100:101], 0, s[0:1]
	global_load_dwordx2 v[120:121], v[106:107], off offset:616
	global_load_dwordx2 v[124:125], v[104:105], off offset:1264
	;; [unrolled: 1-line block ×11, first 2 shown]
	s_movk_i32 s0, 0x4000
	v_add_co_u32_e64 v100, s[0:1], s0, v100
	ds_read2_b64 v[104:107], v151 offset1:77
	s_nop 0
	v_addc_co_u32_e64 v101, s[0:1], 0, v101, s[0:1]
	global_load_dwordx2 v[100:101], v[100:101], off offset:248
	ds_read2_b64 v[108:111], v190 offset0:78 offset1:155
	s_waitcnt vmcnt(13) lgkmcnt(1)
	v_mul_f32_e32 v75, v105, v115
	v_fma_f32 v144, v104, v114, -v75
	v_mul_f32_e32 v145, v104, v115
	v_fmac_f32_e32 v145, v105, v114
	s_waitcnt vmcnt(11)
	v_mul_f32_e32 v105, v106, v121
	v_fmac_f32_e32 v105, v107, v120
	s_waitcnt lgkmcnt(0)
	v_mul_f32_e32 v75, v111, v117
	v_fma_f32 v146, v110, v116, -v75
	v_mul_f32_e32 v147, v110, v117
	v_mul_f32_e32 v75, v107, v121
	v_fmac_f32_e32 v147, v111, v116
	v_fma_f32 v104, v106, v120, -v75
	ds_read2_b64 v[114:117], v189 offset0:104 offset1:181
	ds_write2_b64 v151, v[144:145], v[104:105] offset1:77
	ds_read2_b64 v[104:107], v151 offset0:154 offset1:231
	s_waitcnt vmcnt(10) lgkmcnt(2)
	v_mul_f32_e32 v75, v115, v125
	v_fma_f32 v110, v114, v124, -v75
	s_waitcnt vmcnt(9) lgkmcnt(0)
	v_mul_f32_e32 v75, v105, v127
	v_mul_f32_e32 v121, v104, v127
	v_mul_f32_e32 v111, v114, v125
	v_fma_f32 v120, v104, v126, -v75
	v_fmac_f32_e32 v121, v105, v126
	s_waitcnt vmcnt(8)
	v_mul_f32_e32 v75, v117, v129
	v_mul_f32_e32 v105, v116, v129
	v_fmac_f32_e32 v111, v115, v124
	v_fma_f32 v104, v116, v128, -v75
	v_fmac_f32_e32 v105, v117, v128
	ds_write2_b64 v189, v[110:111], v[104:105] offset0:104 offset1:181
	s_waitcnt vmcnt(7)
	v_mul_f32_e32 v75, v107, v131
	v_mul_f32_e32 v105, v106, v131
	v_fma_f32 v104, v106, v130, -v75
	ds_read2_b64 v[114:117], v187 offset0:2 offset1:79
	v_fmac_f32_e32 v105, v107, v130
	ds_write2_b64 v151, v[120:121], v[104:105] offset0:154 offset1:231
	ds_read2_b64 v[104:107], v191 offset0:52 offset1:129
	s_waitcnt vmcnt(6) lgkmcnt(2)
	v_mul_f32_e32 v75, v115, v133
	v_fma_f32 v110, v114, v132, -v75
	v_mul_f32_e32 v111, v114, v133
	s_waitcnt vmcnt(5) lgkmcnt(0)
	v_mul_f32_e32 v75, v105, v135
	v_mul_f32_e32 v121, v104, v135
	v_fma_f32 v120, v104, v134, -v75
	v_fmac_f32_e32 v121, v105, v134
	s_waitcnt vmcnt(4)
	v_mul_f32_e32 v75, v117, v137
	v_mul_f32_e32 v105, v116, v137
	v_fmac_f32_e32 v111, v115, v132
	v_fma_f32 v104, v116, v136, -v75
	v_fmac_f32_e32 v105, v117, v136
	ds_read2_b64 v[114:117], v187 offset0:156 offset1:233
	ds_write2_b64 v187, v[110:111], v[104:105] offset0:2 offset1:79
	s_waitcnt vmcnt(3)
	v_mul_f32_e32 v75, v107, v139
	v_mul_f32_e32 v105, v106, v139
	v_fma_f32 v104, v106, v138, -v75
	v_fmac_f32_e32 v105, v107, v138
	s_waitcnt vmcnt(2) lgkmcnt(1)
	v_mul_f32_e32 v75, v115, v141
	ds_write2_b64 v191, v[120:121], v[104:105] offset0:52 offset1:129
	v_fma_f32 v104, v114, v140, -v75
	s_waitcnt vmcnt(1)
	v_mul_f32_e32 v75, v109, v143
	v_mul_f32_e32 v107, v108, v143
	v_fma_f32 v106, v108, v142, -v75
	v_fmac_f32_e32 v107, v109, v142
	v_mul_f32_e32 v105, v114, v141
	ds_write2_b64 v190, v[106:107], v[146:147] offset0:78 offset1:155
	s_waitcnt vmcnt(0)
	v_mul_f32_e32 v75, v117, v101
	v_mul_f32_e32 v107, v116, v101
	v_fmac_f32_e32 v105, v115, v140
	v_fma_f32 v106, v116, v100, -v75
	v_fmac_f32_e32 v107, v117, v100
	ds_write2_b64 v187, v[104:105], v[106:107] offset0:156 offset1:233
	s_waitcnt lgkmcnt(0)
	s_barrier
	ds_read2_b64 v[114:117], v190 offset0:78 offset1:155
	ds_read2_b64 v[104:107], v187 offset0:156 offset1:233
	ds_read2_b64 v[124:127], v151 offset1:77
	ds_read2_b64 v[128:131], v189 offset0:104 offset1:181
	ds_read2_b64 v[200:203], v191 offset0:52 offset1:129
	;; [unrolled: 1-line block ×4, first 2 shown]
	s_waitcnt lgkmcnt(5)
	v_pk_add_f32 v[110:111], v[114:115], v[106:107] neg_lo:[0,1] neg_hi:[0,1]
	s_waitcnt lgkmcnt(3)
	v_pk_add_f32 v[128:129], v[126:127], v[128:129] neg_lo:[0,1] neg_hi:[0,1]
	;; [unrolled: 2-line block ×3, first 2 shown]
	v_pk_add_f32 v[116:117], v[124:125], v[116:117] neg_lo:[0,1] neg_hi:[0,1]
	v_pk_fma_f32 v[108:109], v[114:115], 2.0, v[110:111] op_sel_hi:[1,0,1] neg_lo:[0,0,1] neg_hi:[0,0,1]
	v_pk_fma_f32 v[126:127], v[126:127], 2.0, v[128:129] op_sel_hi:[1,0,1] neg_lo:[0,0,1] neg_hi:[0,0,1]
	s_waitcnt lgkmcnt(1)
	v_pk_add_f32 v[206:207], v[192:193], v[130:131] neg_lo:[0,1] neg_hi:[0,1]
	s_waitcnt lgkmcnt(0)
	v_pk_add_f32 v[196:197], v[194:195], v[196:197] neg_lo:[0,1] neg_hi:[0,1]
	v_pk_add_f32 v[214:215], v[200:201], v[198:199] neg_lo:[0,1] neg_hi:[0,1]
	v_pk_fma_f32 v[104:105], v[202:203], 2.0, v[106:107] op_sel_hi:[1,0,1] neg_lo:[0,0,1] neg_hi:[0,0,1]
	v_pk_fma_f32 v[114:115], v[124:125], 2.0, v[116:117] op_sel_hi:[1,0,1] neg_lo:[0,0,1] neg_hi:[0,0,1]
	v_accvgpr_read_b32 v100, a29
	v_pk_fma_f32 v[204:205], v[192:193], 2.0, v[206:207] op_sel_hi:[1,0,1] neg_lo:[0,0,1] neg_hi:[0,0,1]
	v_pk_fma_f32 v[194:195], v[194:195], 2.0, v[196:197] op_sel_hi:[1,0,1] neg_lo:[0,0,1] neg_hi:[0,0,1]
	;; [unrolled: 1-line block ×3, first 2 shown]
	s_barrier
	ds_write_b128 v173, v[114:117]
	ds_write_b128 v100, v[126:129]
	;; [unrolled: 1-line block ×7, first 2 shown]
	s_waitcnt lgkmcnt(0)
	s_barrier
	ds_read2_b64 v[112:115], v151 offset1:98
	ds_read2_b64 v[128:131], v41 offset0:68 offset1:166
	ds_read2_b64 v[124:127], v191 offset0:136 offset1:234
	;; [unrolled: 1-line block ×4, first 2 shown]
	ds_read_b64 v[104:105], v151 offset:7840
	v_mov_b32_e32 v75, v74
	v_mov_b32_e32 v41, v40
	;; [unrolled: 1-line block ×4, first 2 shown]
	s_and_saveexec_b64 s[0:1], vcc
	s_cbranch_execz .LBB0_7
; %bb.6:
	ds_read2_b64 v[106:109], v151 offset0:77 offset1:175
	ds_read2_b64 v[100:103], v191 offset0:17 offset1:115
	;; [unrolled: 1-line block ×5, first 2 shown]
	ds_read_b64 v[174:175], v151 offset:8456
	s_waitcnt lgkmcnt(4)
	v_mov_b64_e32 v[110:111], v[100:101]
.LBB0_7:
	s_or_b64 exec, exec, s[0:1]
	s_waitcnt lgkmcnt(4)
	v_pk_mul_f32 v[134:135], v[164:165], v[128:129]
	v_pk_mul_f32 v[136:137], v[182:183], v[130:131]
	v_pk_fma_f32 v[154:155], v[54:55], v[128:129], v[134:135] op_sel:[0,0,1] op_sel_hi:[1,1,0]
	v_pk_fma_f32 v[54:55], v[54:55], v[128:129], v[134:135] op_sel:[0,0,1] op_sel_hi:[1,1,0] neg_lo:[0,0,1] neg_hi:[0,0,1]
	s_waitcnt lgkmcnt(3)
	v_pk_mul_f32 v[138:139], v[166:167], v[124:125]
	v_mov_b32_e32 v155, v55
	v_pk_fma_f32 v[54:55], v[80:81], v[130:131], v[136:137] op_sel:[0,0,1] op_sel_hi:[1,1,0]
	v_pk_fma_f32 v[80:81], v[80:81], v[130:131], v[136:137] op_sel:[0,0,1] op_sel_hi:[1,1,0] neg_lo:[0,0,1] neg_hi:[0,0,1]
	v_pk_mul_f32 v[140:141], v[180:181], v[126:127]
	v_mov_b32_e32 v55, v81
	v_pk_fma_f32 v[80:81], v[82:83], v[124:125], v[138:139] op_sel:[0,0,1] op_sel_hi:[1,1,0]
	v_pk_fma_f32 v[82:83], v[82:83], v[124:125], v[138:139] op_sel:[0,0,1] op_sel_hi:[1,1,0] neg_lo:[0,0,1] neg_hi:[0,0,1]
	s_waitcnt lgkmcnt(2)
	v_pk_mul_f32 v[142:143], v[168:169], v[120:121]
	v_mov_b32_e32 v81, v83
	v_pk_fma_f32 v[82:83], v[76:77], v[126:127], v[140:141] op_sel:[0,0,1] op_sel_hi:[1,1,0]
	v_pk_fma_f32 v[76:77], v[76:77], v[126:127], v[140:141] op_sel:[0,0,1] op_sel_hi:[1,1,0] neg_lo:[0,0,1] neg_hi:[0,0,1]
	v_pk_mul_f32 v[144:145], v[176:177], v[122:123]
	v_mov_b32_e32 v83, v77
	;; [unrolled: 9-line block ×3, first 2 shown]
	v_pk_fma_f32 v[72:73], v[74:75], v[116:117], v[146:147] op_sel:[0,0,1] op_sel_hi:[1,1,0]
	v_pk_fma_f32 v[74:75], v[74:75], v[116:117], v[146:147] op_sel:[0,0,1] op_sel_hi:[1,1,0] neg_lo:[0,0,1] neg_hi:[0,0,1]
	s_waitcnt lgkmcnt(0)
	v_pk_mul_f32 v[152:153], v[172:173], v[104:105]
	v_mov_b32_e32 v73, v75
	v_pk_fma_f32 v[74:75], v[40:41], v[118:119], v[148:149] op_sel:[0,0,1] op_sel_hi:[1,1,0]
	v_pk_fma_f32 v[40:41], v[40:41], v[118:119], v[148:149] op_sel:[0,0,1] op_sel_hi:[1,1,0] neg_lo:[0,0,1] neg_hi:[0,0,1]
	v_pk_mul_f32 v[132:133], v[52:53], v[114:115] op_sel:[1,0]
	v_mov_b32_e32 v75, v41
	v_pk_fma_f32 v[40:41], v[42:43], v[104:105], v[152:153] op_sel:[0,0,1] op_sel_hi:[1,1,0]
	v_pk_fma_f32 v[42:43], v[42:43], v[104:105], v[152:153] op_sel:[0,0,1] op_sel_hi:[1,1,0] neg_lo:[0,0,1] neg_hi:[0,0,1]
	s_mov_b32 s14, 0xbf0a6770
	v_mov_b32_e32 v41, v43
	v_pk_fma_f32 v[42:43], v[52:53], v[114:115], v[132:133] op_sel:[0,0,1] op_sel_hi:[1,1,0]
	v_pk_fma_f32 v[52:53], v[52:53], v[114:115], v[132:133] op_sel:[0,0,1] op_sel_hi:[0,1,0] neg_lo:[0,0,1] neg_hi:[0,0,1]
	v_mov_b32_e32 v43, v53
	v_pk_add_f32 v[52:53], v[112:113], v[42:43]
	v_pk_add_f32 v[104:105], v[42:43], v[40:41]
	;; [unrolled: 1-line block ×3, first 2 shown]
	s_mov_b32 s0, 0x3f575c64
	v_pk_add_f32 v[52:53], v[52:53], v[54:55]
	v_pk_add_f32 v[118:119], v[154:155], v[74:75]
	;; [unrolled: 1-line block ×3, first 2 shown]
	s_mov_b32 s30, 0xbf68dda4
	v_pk_add_f32 v[52:53], v[52:53], v[82:83]
	s_mov_b32 s8, 0x3ed4b147
	v_pk_add_f32 v[52:53], v[52:53], v[76:77]
	;; [unrolled: 2-line block ×5, first 2 shown]
	v_pk_add_f32 v[74:75], v[154:155], v[74:75] neg_lo:[0,1] neg_hi:[0,1]
	v_pk_add_f32 v[52:53], v[52:53], v[40:41]
	v_pk_add_f32 v[40:41], v[42:43], v[40:41] neg_lo:[0,1] neg_hi:[0,1]
	v_pk_mul_f32 v[120:121], v[74:75], s[30:31] op_sel_hi:[1,0]
	v_pk_mul_f32 v[42:43], v[40:41], s[14:15] op_sel_hi:[1,0]
	v_pk_fma_f32 v[122:123], v[118:119], s[8:9], v[120:121] op_sel:[0,0,1] op_sel_hi:[1,0,0]
	v_pk_fma_f32 v[114:115], v[104:105], s[0:1], v[42:43] op_sel:[0,0,1] op_sel_hi:[1,0,0]
	v_pk_fma_f32 v[42:43], v[104:105], s[0:1], v[42:43] op_sel:[0,0,1] op_sel_hi:[1,0,0] neg_lo:[0,0,1] neg_hi:[0,0,1]
	v_mov_b32_e32 v116, v114
	v_mov_b32_e32 v117, v43
	v_pk_fma_f32 v[120:121], v[118:119], s[8:9], v[120:121] op_sel:[0,0,1] op_sel_hi:[1,0,0] neg_lo:[0,0,1] neg_hi:[0,0,1]
	v_pk_add_f32 v[116:117], v[112:113], v[116:117]
	v_mov_b32_e32 v124, v122
	v_mov_b32_e32 v125, v121
	v_pk_add_f32 v[116:117], v[124:125], v[116:117]
	v_pk_add_f32 v[124:125], v[54:55], v[72:73]
	v_pk_add_f32 v[54:55], v[54:55], v[72:73] neg_lo:[0,1] neg_hi:[0,1]
	s_mov_b32 s16, 0xbf27a4f4
	v_pk_mul_f32 v[72:73], v[54:55], s[12:13] op_sel_hi:[1,0]
	s_mov_b32 s22, 0xbe903f40
	v_pk_fma_f32 v[126:127], v[124:125], s[10:11], v[72:73] op_sel:[0,0,1] op_sel_hi:[1,0,0]
	v_pk_fma_f32 v[72:73], v[124:125], s[10:11], v[72:73] op_sel:[0,0,1] op_sel_hi:[1,0,0] neg_lo:[0,0,1] neg_hi:[0,0,1]
	v_mov_b32_e32 v128, v126
	v_mov_b32_e32 v129, v73
	v_pk_add_f32 v[116:117], v[128:129], v[116:117]
	v_pk_add_f32 v[128:129], v[80:81], v[78:79]
	v_pk_add_f32 v[78:79], v[80:81], v[78:79] neg_lo:[0,1] neg_hi:[0,1]
	s_mov_b32 s20, 0xbf75a155
	v_pk_mul_f32 v[80:81], v[78:79], s[18:19] op_sel_hi:[1,0]
	s_nop 0
	v_pk_fma_f32 v[130:131], v[128:129], s[16:17], v[80:81] op_sel:[0,0,1] op_sel_hi:[1,0,0]
	v_pk_fma_f32 v[80:81], v[128:129], s[16:17], v[80:81] op_sel:[0,0,1] op_sel_hi:[1,0,0] neg_lo:[0,0,1] neg_hi:[0,0,1]
	v_mov_b32_e32 v132, v130
	v_mov_b32_e32 v133, v81
	v_pk_add_f32 v[116:117], v[132:133], v[116:117]
	v_pk_add_f32 v[132:133], v[82:83], v[76:77]
	v_pk_add_f32 v[76:77], v[82:83], v[76:77] neg_lo:[0,1] neg_hi:[0,1]
	s_barrier
	v_pk_mul_f32 v[82:83], v[76:77], s[22:23] op_sel_hi:[1,0]
	s_nop 0
	v_pk_fma_f32 v[134:135], v[132:133], s[20:21], v[82:83] op_sel:[0,0,1] op_sel_hi:[1,0,0]
	v_pk_fma_f32 v[82:83], v[132:133], s[20:21], v[82:83] op_sel:[0,0,1] op_sel_hi:[1,0,0] neg_lo:[0,0,1] neg_hi:[0,0,1]
	v_mov_b32_e32 v136, v134
	v_mov_b32_e32 v137, v83
	v_pk_add_f32 v[116:117], v[136:137], v[116:117]
	ds_write2_b64 v210, v[52:53], v[116:117] offset1:2
	v_pk_mul_f32 v[52:53], v[40:41], s[30:31] op_sel_hi:[1,0]
	v_pk_mul_f32 v[138:139], v[74:75], s[18:19] op_sel_hi:[1,0]
	v_pk_fma_f32 v[116:117], v[104:105], s[8:9], v[52:53] op_sel:[0,0,1] op_sel_hi:[1,0,0]
	v_pk_fma_f32 v[52:53], v[104:105], s[8:9], v[52:53] op_sel:[0,0,1] op_sel_hi:[1,0,0] neg_lo:[0,0,1] neg_hi:[0,0,1]
	v_mov_b32_e32 v136, v116
	v_mov_b32_e32 v137, v53
	v_pk_fma_f32 v[140:141], v[118:119], s[16:17], v[138:139] op_sel:[0,0,1] op_sel_hi:[1,0,0]
	v_pk_fma_f32 v[138:139], v[118:119], s[16:17], v[138:139] op_sel:[0,0,1] op_sel_hi:[1,0,0] neg_lo:[0,0,1] neg_hi:[0,0,1]
	v_pk_add_f32 v[136:137], v[112:113], v[136:137]
	v_mov_b32_e32 v142, v140
	v_mov_b32_e32 v143, v139
	s_mov_b32 s34, 0x3e903f40
	v_pk_add_f32 v[136:137], v[142:143], v[136:137]
	v_pk_mul_f32 v[142:143], v[54:55], s[34:35] op_sel_hi:[1,0]
	s_mov_b32 s28, 0x3f7d64f0
	v_pk_fma_f32 v[144:145], v[124:125], s[20:21], v[142:143] op_sel:[0,0,1] op_sel_hi:[1,0,0]
	v_pk_fma_f32 v[142:143], v[124:125], s[20:21], v[142:143] op_sel:[0,0,1] op_sel_hi:[1,0,0] neg_lo:[0,0,1] neg_hi:[0,0,1]
	v_mov_b32_e32 v146, v144
	v_mov_b32_e32 v147, v143
	v_pk_add_f32 v[136:137], v[146:147], v[136:137]
	v_pk_mul_f32 v[146:147], v[78:79], s[28:29] op_sel_hi:[1,0]
	s_mov_b32 s24, 0x3f0a6770
	v_pk_fma_f32 v[148:149], v[128:129], s[10:11], v[146:147] op_sel:[0,0,1] op_sel_hi:[1,0,0]
	v_pk_fma_f32 v[146:147], v[128:129], s[10:11], v[146:147] op_sel:[0,0,1] op_sel_hi:[1,0,0] neg_lo:[0,0,1] neg_hi:[0,0,1]
	v_mov_b32_e32 v152, v148
	v_mov_b32_e32 v153, v147
	v_pk_add_f32 v[136:137], v[152:153], v[136:137]
	v_pk_mul_f32 v[152:153], v[76:77], s[24:25] op_sel_hi:[1,0]
	v_pk_mul_f32 v[162:163], v[74:75], s[34:35] op_sel_hi:[1,0]
	v_pk_fma_f32 v[154:155], v[132:133], s[0:1], v[152:153] op_sel:[0,0,1] op_sel_hi:[1,0,0]
	v_pk_fma_f32 v[152:153], v[132:133], s[0:1], v[152:153] op_sel:[0,0,1] op_sel_hi:[1,0,0] neg_lo:[0,0,1] neg_hi:[0,0,1]
	v_mov_b32_e32 v156, v154
	v_mov_b32_e32 v157, v153
	v_pk_add_f32 v[136:137], v[156:157], v[136:137]
	v_pk_mul_f32 v[156:157], v[40:41], s[12:13] op_sel_hi:[1,0]
	v_pk_fma_f32 v[164:165], v[118:119], s[20:21], v[162:163] op_sel:[0,0,1] op_sel_hi:[1,0,0]
	v_pk_fma_f32 v[158:159], v[104:105], s[10:11], v[156:157] op_sel:[0,0,1] op_sel_hi:[1,0,0]
	v_pk_fma_f32 v[156:157], v[104:105], s[10:11], v[156:157] op_sel:[0,0,1] op_sel_hi:[1,0,0] neg_lo:[0,0,1] neg_hi:[0,0,1]
	v_mov_b32_e32 v160, v158
	v_mov_b32_e32 v161, v157
	v_pk_fma_f32 v[162:163], v[118:119], s[20:21], v[162:163] op_sel:[0,0,1] op_sel_hi:[1,0,0] neg_lo:[0,0,1] neg_hi:[0,0,1]
	v_pk_add_f32 v[160:161], v[112:113], v[160:161]
	v_mov_b32_e32 v166, v164
	v_mov_b32_e32 v167, v163
	s_mov_b32 s26, 0x3f68dda4
	v_pk_add_f32 v[160:161], v[166:167], v[160:161]
	v_pk_mul_f32 v[166:167], v[54:55], s[26:27] op_sel_hi:[1,0]
	v_pk_mul_f32 v[182:183], v[74:75], s[28:29] op_sel_hi:[1,0]
	v_pk_fma_f32 v[168:169], v[124:125], s[8:9], v[166:167] op_sel:[0,0,1] op_sel_hi:[1,0,0]
	v_pk_fma_f32 v[166:167], v[124:125], s[8:9], v[166:167] op_sel:[0,0,1] op_sel_hi:[1,0,0] neg_lo:[0,0,1] neg_hi:[0,0,1]
	v_mov_b32_e32 v170, v168
	v_mov_b32_e32 v171, v167
	v_pk_add_f32 v[160:161], v[170:171], v[160:161]
	v_pk_mul_f32 v[170:171], v[78:79], s[14:15] op_sel_hi:[1,0]
	v_pk_fma_f32 v[190:191], v[118:119], s[10:11], v[182:183] op_sel:[0,0,1] op_sel_hi:[1,0,0]
	v_pk_fma_f32 v[172:173], v[128:129], s[0:1], v[170:171] op_sel:[0,0,1] op_sel_hi:[1,0,0]
	v_pk_fma_f32 v[170:171], v[128:129], s[0:1], v[170:171] op_sel:[0,0,1] op_sel_hi:[1,0,0] neg_lo:[0,0,1] neg_hi:[0,0,1]
	v_mov_b32_e32 v176, v172
	v_mov_b32_e32 v177, v171
	v_pk_add_f32 v[160:161], v[176:177], v[160:161]
	v_pk_mul_f32 v[176:177], v[76:77], s[18:19] op_sel_hi:[1,0]
	v_pk_fma_f32 v[182:183], v[118:119], s[10:11], v[182:183] op_sel:[0,0,1] op_sel_hi:[1,0,0] neg_lo:[0,0,1] neg_hi:[0,0,1]
	v_pk_fma_f32 v[178:179], v[132:133], s[16:17], v[176:177] op_sel:[0,0,1] op_sel_hi:[1,0,0]
	v_pk_fma_f32 v[176:177], v[132:133], s[16:17], v[176:177] op_sel:[0,0,1] op_sel_hi:[1,0,0] neg_lo:[0,0,1] neg_hi:[0,0,1]
	v_mov_b32_e32 v180, v178
	v_mov_b32_e32 v181, v177
	v_pk_add_f32 v[160:161], v[180:181], v[160:161]
	ds_write2_b64 v210, v[136:137], v[160:161] offset0:4 offset1:6
	v_pk_mul_f32 v[136:137], v[40:41], s[18:19] op_sel_hi:[1,0]
	v_mov_b32_e32 v192, v190
	v_pk_fma_f32 v[160:161], v[104:105], s[16:17], v[136:137] op_sel:[0,0,1] op_sel_hi:[1,0,0]
	v_pk_fma_f32 v[136:137], v[104:105], s[16:17], v[136:137] op_sel:[0,0,1] op_sel_hi:[1,0,0] neg_lo:[0,0,1] neg_hi:[0,0,1]
	v_mov_b32_e32 v180, v160
	v_mov_b32_e32 v181, v137
	v_pk_add_f32 v[180:181], v[112:113], v[180:181]
	v_mov_b32_e32 v193, v183
	v_pk_add_f32 v[180:181], v[192:193], v[180:181]
	v_pk_mul_f32 v[192:193], v[54:55], s[14:15] op_sel_hi:[1,0]
	v_pk_mul_f32 v[40:41], v[40:41], s[22:23] op_sel_hi:[1,0]
	v_pk_fma_f32 v[194:195], v[124:125], s[0:1], v[192:193] op_sel:[0,0,1] op_sel_hi:[1,0,0]
	v_pk_fma_f32 v[192:193], v[124:125], s[0:1], v[192:193] op_sel:[0,0,1] op_sel_hi:[1,0,0] neg_lo:[0,0,1] neg_hi:[0,0,1]
	v_mov_b32_e32 v196, v194
	v_mov_b32_e32 v197, v193
	v_pk_add_f32 v[180:181], v[196:197], v[180:181]
	v_pk_mul_f32 v[196:197], v[78:79], s[22:23] op_sel_hi:[1,0]
	v_pk_mul_f32 v[74:75], v[74:75], s[24:25] op_sel_hi:[1,0]
	v_pk_fma_f32 v[198:199], v[128:129], s[20:21], v[196:197] op_sel:[0,0,1] op_sel_hi:[1,0,0]
	v_pk_fma_f32 v[196:197], v[128:129], s[20:21], v[196:197] op_sel:[0,0,1] op_sel_hi:[1,0,0] neg_lo:[0,0,1] neg_hi:[0,0,1]
	v_mov_b32_e32 v200, v198
	v_mov_b32_e32 v201, v197
	v_pk_add_f32 v[180:181], v[200:201], v[180:181]
	v_pk_mul_f32 v[200:201], v[76:77], s[26:27] op_sel_hi:[1,0]
	v_pk_fma_f32 v[206:207], v[118:119], s[0:1], v[74:75] op_sel:[0,0,1] op_sel_hi:[1,0,0]
	v_pk_fma_f32 v[202:203], v[132:133], s[8:9], v[200:201] op_sel:[0,0,1] op_sel_hi:[1,0,0]
	v_pk_fma_f32 v[200:201], v[132:133], s[8:9], v[200:201] op_sel:[0,0,1] op_sel_hi:[1,0,0] neg_lo:[0,0,1] neg_hi:[0,0,1]
	v_mov_b32_e32 v204, v202
	v_mov_b32_e32 v205, v201
	v_pk_add_f32 v[180:181], v[204:205], v[180:181]
	v_pk_fma_f32 v[204:205], v[104:105], s[20:21], v[40:41] op_sel:[0,0,1] op_sel_hi:[1,0,0]
	v_pk_fma_f32 v[40:41], v[104:105], s[20:21], v[40:41] op_sel:[0,0,1] op_sel_hi:[1,0,0] neg_lo:[0,0,1] neg_hi:[0,0,1]
	v_mov_b32_e32 v104, v204
	v_mov_b32_e32 v105, v41
	v_pk_fma_f32 v[74:75], v[118:119], s[0:1], v[74:75] op_sel:[0,0,1] op_sel_hi:[1,0,0] neg_lo:[0,0,1] neg_hi:[0,0,1]
	v_pk_add_f32 v[104:105], v[112:113], v[104:105]
	v_mov_b32_e32 v118, v206
	v_mov_b32_e32 v119, v75
	v_pk_mul_f32 v[54:55], v[54:55], s[18:19] op_sel_hi:[1,0]
	v_mov_b32_e32 v41, v205
	v_pk_add_f32 v[104:105], v[118:119], v[104:105]
	v_pk_fma_f32 v[118:119], v[124:125], s[16:17], v[54:55] op_sel:[0,0,1] op_sel_hi:[1,0,0]
	v_pk_fma_f32 v[54:55], v[124:125], s[16:17], v[54:55] op_sel:[0,0,1] op_sel_hi:[1,0,0] neg_lo:[0,0,1] neg_hi:[0,0,1]
	v_pk_add_f32 v[40:41], v[112:113], v[40:41]
	v_mov_b32_e32 v75, v207
	v_mov_b32_e32 v124, v118
	v_mov_b32_e32 v125, v55
	v_pk_mul_f32 v[78:79], v[78:79], s[26:27] op_sel_hi:[1,0]
	v_pk_add_f32 v[40:41], v[74:75], v[40:41]
	v_mov_b32_e32 v55, v119
	v_mov_b32_e32 v137, v161
	v_pk_add_f32 v[104:105], v[124:125], v[104:105]
	v_pk_fma_f32 v[124:125], v[128:129], s[8:9], v[78:79] op_sel:[0,0,1] op_sel_hi:[1,0,0]
	v_pk_fma_f32 v[78:79], v[128:129], s[8:9], v[78:79] op_sel:[0,0,1] op_sel_hi:[1,0,0] neg_lo:[0,0,1] neg_hi:[0,0,1]
	v_pk_add_f32 v[40:41], v[54:55], v[40:41]
	v_pk_add_f32 v[54:55], v[112:113], v[136:137]
	v_mov_b32_e32 v183, v191
	v_mov_b32_e32 v128, v124
	;; [unrolled: 1-line block ×3, first 2 shown]
	v_pk_mul_f32 v[76:77], v[76:77], s[12:13] op_sel_hi:[1,0]
	v_pk_add_f32 v[54:55], v[182:183], v[54:55]
	v_mov_b32_e32 v193, v195
	v_pk_add_f32 v[104:105], v[128:129], v[104:105]
	v_pk_fma_f32 v[128:129], v[132:133], s[10:11], v[76:77] op_sel:[0,0,1] op_sel_hi:[1,0,0]
	v_pk_fma_f32 v[76:77], v[132:133], s[10:11], v[76:77] op_sel:[0,0,1] op_sel_hi:[1,0,0] neg_lo:[0,0,1] neg_hi:[0,0,1]
	v_mov_b32_e32 v79, v125
	v_pk_add_f32 v[54:55], v[192:193], v[54:55]
	v_mov_b32_e32 v197, v199
	v_mov_b32_e32 v133, v77
	v_pk_add_f32 v[40:41], v[78:79], v[40:41]
	v_mov_b32_e32 v77, v129
	v_pk_add_f32 v[54:55], v[196:197], v[54:55]
	v_mov_b32_e32 v201, v203
	v_pk_add_f32 v[40:41], v[76:77], v[40:41]
	v_pk_add_f32 v[54:55], v[200:201], v[54:55]
	v_mov_b32_e32 v157, v159
	v_mov_b32_e32 v53, v117
	ds_write2_b64 v210, v[40:41], v[54:55] offset0:12 offset1:14
	v_pk_add_f32 v[40:41], v[112:113], v[156:157]
	v_mov_b32_e32 v163, v165
	v_pk_add_f32 v[52:53], v[112:113], v[52:53]
	v_mov_b32_e32 v139, v141
	;; [unrolled: 2-line block ×8, first 2 shown]
	v_pk_add_f32 v[40:41], v[176:177], v[40:41]
	v_pk_add_f32 v[52:53], v[152:153], v[52:53]
	v_mov_b32_e32 v43, v115
	ds_write2_b64 v210, v[40:41], v[52:53] offset0:16 offset1:18
	v_pk_add_f32 v[40:41], v[112:113], v[42:43]
	v_mov_b32_e32 v121, v123
	v_pk_add_f32 v[40:41], v[120:121], v[40:41]
	v_mov_b32_e32 v73, v127
	;; [unrolled: 2-line block ×3, first 2 shown]
	v_mov_b32_e32 v132, v128
	v_pk_add_f32 v[40:41], v[80:81], v[40:41]
	v_mov_b32_e32 v83, v135
	v_add_u32_e32 v100, 0x268, v151
	v_pk_add_f32 v[104:105], v[132:133], v[104:105]
	v_pk_add_f32 v[40:41], v[82:83], v[40:41]
	ds_write2_b64 v210, v[180:181], v[104:105] offset0:8 offset1:10
	ds_write_b64 v210, v[40:41] offset:160
	s_and_saveexec_b64 s[36:37], vcc
	s_cbranch_execz .LBB0_9
; %bb.8:
	v_pk_mul_f32 v[40:41], v[18:19], v[174:175] op_sel:[0,1]
	v_mul_u32_u24_e32 v101, 22, v188
	v_accvgpr_read_b32 v104, a28
	v_pk_mul_f32 v[54:55], v[2:3], v[110:111] op_sel_hi:[1,0]
	v_or_b32_e32 v101, v101, v104
	v_pk_fma_f32 v[104:105], v[18:19], v[174:175], v[40:41] op_sel:[0,0,1] op_sel_hi:[1,1,0]
	v_pk_fma_f32 v[18:19], v[18:19], v[174:175], v[40:41] op_sel:[0,0,1] op_sel_hi:[1,0,0] neg_lo:[1,0,0] neg_hi:[1,0,0]
	v_pk_mul_f32 v[52:53], v[16:17], v[22:23] op_sel:[0,1]
	v_mov_b32_e32 v105, v19
	v_pk_fma_f32 v[18:19], v[2:3], v[110:111], v[54:55] op_sel:[1,1,0] op_sel_hi:[0,1,1]
	v_pk_fma_f32 v[2:3], v[2:3], v[110:111], v[54:55] op_sel:[1,1,0] op_sel_hi:[0,1,1] neg_lo:[0,0,1] neg_hi:[0,0,1]
	v_pk_mul_f32 v[74:75], v[8:9], v[102:103] op_sel:[0,1]
	v_mov_b32_e32 v19, v3
	;; [unrolled: 4-line block ×8, first 2 shown]
	v_pk_fma_f32 v[4:5], v[6:7], v[28:29], v[80:81] op_sel:[0,0,1] op_sel_hi:[1,1,0]
	v_pk_fma_f32 v[6:7], v[6:7], v[28:29], v[80:81] op_sel:[0,0,1] op_sel_hi:[1,0,0] neg_lo:[1,0,0] neg_hi:[1,0,0]
	v_pk_add_f32 v[24:25], v[18:19], v[2:3] neg_lo:[0,1] neg_hi:[0,1]
	v_mov_b32_e32 v5, v7
	v_pk_fma_f32 v[6:7], v[0:1], v[108:109], v[42:43] op_sel:[0,0,1] op_sel_hi:[1,1,0]
	v_pk_fma_f32 v[0:1], v[0:1], v[108:109], v[42:43] op_sel:[0,0,1] op_sel_hi:[1,0,0] neg_lo:[1,0,0] neg_hi:[1,0,0]
	v_pk_add_f32 v[22:23], v[2:3], v[18:19]
	v_mov_b32_e32 v7, v1
	v_pk_add_f32 v[20:21], v[6:7], v[104:105] neg_lo:[0,1] neg_hi:[0,1]
	v_pk_add_f32 v[0:1], v[104:105], v[6:7]
	v_pk_mul_f32 v[54:55], v[20:21], s[14:15] op_sel_hi:[1,0]
	v_pk_mul_f32 v[76:77], v[24:25], s[30:31] op_sel_hi:[1,0]
	v_pk_fma_f32 v[72:73], v[0:1], s[0:1], v[54:55] op_sel:[0,0,1] op_sel_hi:[1,0,0]
	v_pk_fma_f32 v[54:55], v[0:1], s[0:1], v[54:55] op_sel:[0,0,1] op_sel_hi:[1,0,0] neg_lo:[0,0,1] neg_hi:[0,0,1]
	v_mov_b32_e32 v74, v72
	v_mov_b32_e32 v75, v55
	v_pk_fma_f32 v[78:79], v[22:23], s[8:9], v[76:77] op_sel:[0,0,1] op_sel_hi:[1,0,0]
	v_pk_fma_f32 v[76:77], v[22:23], s[8:9], v[76:77] op_sel:[0,0,1] op_sel_hi:[1,0,0] neg_lo:[0,0,1] neg_hi:[0,0,1]
	v_pk_add_f32 v[28:29], v[16:17], v[8:9] neg_lo:[0,1] neg_hi:[0,1]
	v_pk_add_f32 v[74:75], v[106:107], v[74:75]
	v_mov_b32_e32 v80, v78
	v_mov_b32_e32 v81, v77
	v_pk_add_f32 v[26:27], v[8:9], v[16:17]
	v_pk_add_f32 v[74:75], v[80:81], v[74:75]
	v_pk_mul_f32 v[80:81], v[28:29], s[12:13] op_sel_hi:[1,0]
	v_pk_add_f32 v[6:7], v[106:107], v[6:7]
	v_pk_fma_f32 v[82:83], v[26:27], s[10:11], v[80:81] op_sel:[0,0,1] op_sel_hi:[1,0,0]
	v_pk_fma_f32 v[80:81], v[26:27], s[10:11], v[80:81] op_sel:[0,0,1] op_sel_hi:[1,0,0] neg_lo:[0,0,1] neg_hi:[0,0,1]
	v_pk_add_f32 v[6:7], v[18:19], v[6:7]
	v_pk_add_f32 v[40:41], v[14:15], v[10:11] neg_lo:[0,1] neg_hi:[0,1]
	v_mov_b32_e32 v102, v82
	v_mov_b32_e32 v103, v81
	v_pk_add_f32 v[6:7], v[16:17], v[6:7]
	v_pk_add_f32 v[30:31], v[10:11], v[14:15]
	;; [unrolled: 1-line block ×3, first 2 shown]
	v_pk_mul_f32 v[102:103], v[40:41], s[18:19] op_sel_hi:[1,0]
	v_pk_add_f32 v[6:7], v[14:15], v[6:7]
	v_pk_fma_f32 v[108:109], v[30:31], s[16:17], v[102:103] op_sel:[0,0,1] op_sel_hi:[1,0,0]
	v_pk_fma_f32 v[102:103], v[30:31], s[16:17], v[102:103] op_sel:[0,0,1] op_sel_hi:[1,0,0] neg_lo:[0,0,1] neg_hi:[0,0,1]
	v_pk_add_f32 v[6:7], v[12:13], v[6:7]
	v_pk_add_f32 v[42:43], v[4:5], v[12:13]
	v_pk_add_f32 v[52:53], v[12:13], v[4:5] neg_lo:[0,1] neg_hi:[0,1]
	v_mov_b32_e32 v110, v108
	v_mov_b32_e32 v111, v103
	v_pk_add_f32 v[4:5], v[4:5], v[6:7]
	v_pk_add_f32 v[74:75], v[110:111], v[74:75]
	v_pk_mul_f32 v[110:111], v[52:53], s[22:23] op_sel_hi:[1,0]
	v_pk_add_f32 v[4:5], v[10:11], v[4:5]
	v_pk_fma_f32 v[112:113], v[42:43], s[20:21], v[110:111] op_sel:[0,0,1] op_sel_hi:[1,0,0]
	v_pk_fma_f32 v[110:111], v[42:43], s[20:21], v[110:111] op_sel:[0,0,1] op_sel_hi:[1,0,0] neg_lo:[0,0,1] neg_hi:[0,0,1]
	v_pk_add_f32 v[4:5], v[8:9], v[4:5]
	v_mov_b32_e32 v114, v112
	v_mov_b32_e32 v115, v111
	v_pk_add_f32 v[2:3], v[2:3], v[4:5]
	v_lshl_add_u32 v101, v101, 3, v209
	v_pk_add_f32 v[74:75], v[114:115], v[74:75]
	v_pk_add_f32 v[2:3], v[104:105], v[2:3]
	ds_write2_b64 v101, v[2:3], v[74:75] offset1:2
	v_pk_mul_f32 v[2:3], v[20:21], s[30:31] op_sel_hi:[1,0]
	v_pk_mul_f32 v[8:9], v[24:25], s[18:19] op_sel_hi:[1,0]
	v_pk_fma_f32 v[4:5], v[0:1], s[8:9], v[2:3] op_sel:[0,0,1] op_sel_hi:[1,0,0]
	v_pk_fma_f32 v[2:3], v[0:1], s[8:9], v[2:3] op_sel:[0,0,1] op_sel_hi:[1,0,0] neg_lo:[0,0,1] neg_hi:[0,0,1]
	v_mov_b32_e32 v6, v4
	v_mov_b32_e32 v7, v3
	v_pk_fma_f32 v[10:11], v[22:23], s[16:17], v[8:9] op_sel:[0,0,1] op_sel_hi:[1,0,0]
	v_pk_fma_f32 v[8:9], v[22:23], s[16:17], v[8:9] op_sel:[0,0,1] op_sel_hi:[1,0,0] neg_lo:[0,0,1] neg_hi:[0,0,1]
	v_pk_add_f32 v[6:7], v[106:107], v[6:7]
	v_mov_b32_e32 v12, v10
	v_mov_b32_e32 v13, v9
	v_pk_add_f32 v[6:7], v[12:13], v[6:7]
	v_pk_mul_f32 v[12:13], v[28:29], s[34:35] op_sel_hi:[1,0]
	v_pk_mul_f32 v[120:121], v[24:25], s[34:35] op_sel_hi:[1,0]
	v_pk_fma_f32 v[14:15], v[26:27], s[20:21], v[12:13] op_sel:[0,0,1] op_sel_hi:[1,0,0]
	v_pk_fma_f32 v[12:13], v[26:27], s[20:21], v[12:13] op_sel:[0,0,1] op_sel_hi:[1,0,0] neg_lo:[0,0,1] neg_hi:[0,0,1]
	v_mov_b32_e32 v16, v14
	v_mov_b32_e32 v17, v13
	v_pk_add_f32 v[6:7], v[16:17], v[6:7]
	v_pk_mul_f32 v[16:17], v[40:41], s[28:29] op_sel_hi:[1,0]
	v_pk_fma_f32 v[122:123], v[22:23], s[20:21], v[120:121] op_sel:[0,0,1] op_sel_hi:[1,0,0]
	v_pk_fma_f32 v[18:19], v[30:31], s[10:11], v[16:17] op_sel:[0,0,1] op_sel_hi:[1,0,0]
	v_pk_fma_f32 v[16:17], v[30:31], s[10:11], v[16:17] op_sel:[0,0,1] op_sel_hi:[1,0,0] neg_lo:[0,0,1] neg_hi:[0,0,1]
	v_mov_b32_e32 v74, v18
	v_mov_b32_e32 v75, v17
	v_pk_add_f32 v[6:7], v[74:75], v[6:7]
	v_pk_mul_f32 v[74:75], v[52:53], s[24:25] op_sel_hi:[1,0]
	v_pk_fma_f32 v[120:121], v[22:23], s[20:21], v[120:121] op_sel:[0,0,1] op_sel_hi:[1,0,0] neg_lo:[0,0,1] neg_hi:[0,0,1]
	v_pk_fma_f32 v[104:105], v[42:43], s[0:1], v[74:75] op_sel:[0,0,1] op_sel_hi:[1,0,0]
	v_pk_fma_f32 v[74:75], v[42:43], s[0:1], v[74:75] op_sel:[0,0,1] op_sel_hi:[1,0,0] neg_lo:[0,0,1] neg_hi:[0,0,1]
	v_mov_b32_e32 v114, v104
	v_mov_b32_e32 v115, v75
	v_pk_add_f32 v[6:7], v[114:115], v[6:7]
	v_pk_mul_f32 v[114:115], v[20:21], s[12:13] op_sel_hi:[1,0]
	v_mov_b32_e32 v124, v122
	v_pk_fma_f32 v[116:117], v[0:1], s[10:11], v[114:115] op_sel:[0,0,1] op_sel_hi:[1,0,0]
	v_pk_fma_f32 v[114:115], v[0:1], s[10:11], v[114:115] op_sel:[0,0,1] op_sel_hi:[1,0,0] neg_lo:[0,0,1] neg_hi:[0,0,1]
	v_mov_b32_e32 v118, v116
	v_mov_b32_e32 v119, v115
	v_pk_add_f32 v[118:119], v[106:107], v[118:119]
	v_mov_b32_e32 v125, v121
	v_pk_add_f32 v[118:119], v[124:125], v[118:119]
	v_pk_mul_f32 v[124:125], v[28:29], s[26:27] op_sel_hi:[1,0]
	v_pk_mul_f32 v[138:139], v[24:25], s[28:29] op_sel_hi:[1,0]
	v_pk_fma_f32 v[126:127], v[26:27], s[8:9], v[124:125] op_sel:[0,0,1] op_sel_hi:[1,0,0]
	v_pk_fma_f32 v[124:125], v[26:27], s[8:9], v[124:125] op_sel:[0,0,1] op_sel_hi:[1,0,0] neg_lo:[0,0,1] neg_hi:[0,0,1]
	v_mov_b32_e32 v128, v126
	v_mov_b32_e32 v129, v125
	v_pk_add_f32 v[118:119], v[128:129], v[118:119]
	v_pk_mul_f32 v[128:129], v[40:41], s[14:15] op_sel_hi:[1,0]
	v_pk_fma_f32 v[140:141], v[22:23], s[10:11], v[138:139] op_sel:[0,0,1] op_sel_hi:[1,0,0]
	v_pk_fma_f32 v[130:131], v[30:31], s[0:1], v[128:129] op_sel:[0,0,1] op_sel_hi:[1,0,0]
	v_pk_fma_f32 v[128:129], v[30:31], s[0:1], v[128:129] op_sel:[0,0,1] op_sel_hi:[1,0,0] neg_lo:[0,0,1] neg_hi:[0,0,1]
	v_mov_b32_e32 v132, v130
	v_mov_b32_e32 v133, v129
	v_pk_add_f32 v[118:119], v[132:133], v[118:119]
	v_pk_mul_f32 v[132:133], v[52:53], s[18:19] op_sel_hi:[1,0]
	v_pk_fma_f32 v[138:139], v[22:23], s[10:11], v[138:139] op_sel:[0,0,1] op_sel_hi:[1,0,0] neg_lo:[0,0,1] neg_hi:[0,0,1]
	v_pk_fma_f32 v[134:135], v[42:43], s[16:17], v[132:133] op_sel:[0,0,1] op_sel_hi:[1,0,0]
	v_pk_fma_f32 v[132:133], v[42:43], s[16:17], v[132:133] op_sel:[0,0,1] op_sel_hi:[1,0,0] neg_lo:[0,0,1] neg_hi:[0,0,1]
	v_mov_b32_e32 v136, v134
	v_mov_b32_e32 v137, v133
	v_pk_add_f32 v[118:119], v[136:137], v[118:119]
	ds_write2_b64 v101, v[6:7], v[118:119] offset0:4 offset1:6
	v_pk_mul_f32 v[6:7], v[20:21], s[18:19] op_sel_hi:[1,0]
	v_mov_b32_e32 v142, v140
	v_pk_fma_f32 v[118:119], v[0:1], s[16:17], v[6:7] op_sel:[0,0,1] op_sel_hi:[1,0,0]
	v_pk_fma_f32 v[6:7], v[0:1], s[16:17], v[6:7] op_sel:[0,0,1] op_sel_hi:[1,0,0] neg_lo:[0,0,1] neg_hi:[0,0,1]
	v_mov_b32_e32 v136, v118
	v_mov_b32_e32 v137, v7
	v_pk_add_f32 v[136:137], v[106:107], v[136:137]
	v_mov_b32_e32 v143, v139
	v_pk_add_f32 v[136:137], v[142:143], v[136:137]
	v_pk_mul_f32 v[142:143], v[28:29], s[14:15] op_sel_hi:[1,0]
	v_pk_mul_f32 v[20:21], v[20:21], s[22:23] op_sel_hi:[1,0]
	v_pk_fma_f32 v[144:145], v[26:27], s[0:1], v[142:143] op_sel:[0,0,1] op_sel_hi:[1,0,0]
	v_pk_fma_f32 v[142:143], v[26:27], s[0:1], v[142:143] op_sel:[0,0,1] op_sel_hi:[1,0,0] neg_lo:[0,0,1] neg_hi:[0,0,1]
	v_mov_b32_e32 v146, v144
	v_mov_b32_e32 v147, v143
	v_pk_add_f32 v[136:137], v[146:147], v[136:137]
	v_pk_mul_f32 v[146:147], v[40:41], s[22:23] op_sel_hi:[1,0]
	v_pk_mul_f32 v[24:25], v[24:25], s[24:25] op_sel_hi:[1,0]
	v_pk_fma_f32 v[148:149], v[30:31], s[20:21], v[146:147] op_sel:[0,0,1] op_sel_hi:[1,0,0]
	v_pk_fma_f32 v[146:147], v[30:31], s[20:21], v[146:147] op_sel:[0,0,1] op_sel_hi:[1,0,0] neg_lo:[0,0,1] neg_hi:[0,0,1]
	v_mov_b32_e32 v152, v148
	v_mov_b32_e32 v153, v147
	v_pk_add_f32 v[136:137], v[152:153], v[136:137]
	v_pk_mul_f32 v[152:153], v[52:53], s[26:27] op_sel_hi:[1,0]
	v_pk_fma_f32 v[158:159], v[22:23], s[0:1], v[24:25] op_sel:[0,0,1] op_sel_hi:[1,0,0]
	v_pk_fma_f32 v[154:155], v[42:43], s[8:9], v[152:153] op_sel:[0,0,1] op_sel_hi:[1,0,0]
	v_pk_fma_f32 v[152:153], v[42:43], s[8:9], v[152:153] op_sel:[0,0,1] op_sel_hi:[1,0,0] neg_lo:[0,0,1] neg_hi:[0,0,1]
	v_mov_b32_e32 v156, v154
	v_mov_b32_e32 v157, v153
	v_pk_add_f32 v[136:137], v[156:157], v[136:137]
	v_pk_fma_f32 v[156:157], v[0:1], s[20:21], v[20:21] op_sel:[0,0,1] op_sel_hi:[1,0,0]
	v_pk_fma_f32 v[0:1], v[0:1], s[20:21], v[20:21] op_sel:[0,0,1] op_sel_hi:[1,0,0] neg_lo:[0,0,1] neg_hi:[0,0,1]
	v_mov_b32_e32 v20, v156
	v_mov_b32_e32 v21, v1
	v_pk_fma_f32 v[22:23], v[22:23], s[0:1], v[24:25] op_sel:[0,0,1] op_sel_hi:[1,0,0] neg_lo:[0,0,1] neg_hi:[0,0,1]
	v_pk_add_f32 v[20:21], v[106:107], v[20:21]
	v_mov_b32_e32 v24, v158
	v_mov_b32_e32 v25, v23
	v_pk_add_f32 v[20:21], v[24:25], v[20:21]
	v_pk_mul_f32 v[24:25], v[28:29], s[18:19] op_sel_hi:[1,0]
	v_mov_b32_e32 v1, v157
	v_pk_fma_f32 v[28:29], v[26:27], s[16:17], v[24:25] op_sel:[0,0,1] op_sel_hi:[1,0,0]
	v_pk_fma_f32 v[24:25], v[26:27], s[16:17], v[24:25] op_sel:[0,0,1] op_sel_hi:[1,0,0] neg_lo:[0,0,1] neg_hi:[0,0,1]
	v_mov_b32_e32 v26, v28
	v_mov_b32_e32 v27, v25
	v_pk_add_f32 v[20:21], v[26:27], v[20:21]
	v_pk_mul_f32 v[26:27], v[40:41], s[26:27] op_sel_hi:[1,0]
	v_mov_b32_e32 v7, v119
	v_pk_fma_f32 v[40:41], v[30:31], s[8:9], v[26:27] op_sel:[0,0,1] op_sel_hi:[1,0,0]
	v_pk_fma_f32 v[26:27], v[30:31], s[8:9], v[26:27] op_sel:[0,0,1] op_sel_hi:[1,0,0] neg_lo:[0,0,1] neg_hi:[0,0,1]
	v_mov_b32_e32 v30, v40
	v_mov_b32_e32 v31, v27
	v_pk_add_f32 v[0:1], v[106:107], v[0:1]
	v_mov_b32_e32 v23, v159
	v_pk_add_f32 v[6:7], v[106:107], v[6:7]
	;; [unrolled: 2-line block ×3, first 2 shown]
	v_pk_mul_f32 v[30:31], v[52:53], s[12:13] op_sel_hi:[1,0]
	v_pk_add_f32 v[0:1], v[22:23], v[0:1]
	v_mov_b32_e32 v25, v29
	v_pk_add_f32 v[6:7], v[138:139], v[6:7]
	v_mov_b32_e32 v143, v145
	v_pk_fma_f32 v[52:53], v[42:43], s[10:11], v[30:31] op_sel:[0,0,1] op_sel_hi:[1,0,0]
	v_pk_fma_f32 v[30:31], v[42:43], s[10:11], v[30:31] op_sel:[0,0,1] op_sel_hi:[1,0,0] neg_lo:[0,0,1] neg_hi:[0,0,1]
	v_pk_add_f32 v[0:1], v[24:25], v[0:1]
	v_mov_b32_e32 v27, v41
	v_pk_add_f32 v[6:7], v[142:143], v[6:7]
	v_mov_b32_e32 v147, v149
	v_mov_b32_e32 v43, v31
	v_pk_add_f32 v[0:1], v[26:27], v[0:1]
	v_mov_b32_e32 v31, v53
	v_pk_add_f32 v[6:7], v[146:147], v[6:7]
	;; [unrolled: 2-line block ×3, first 2 shown]
	v_pk_add_f32 v[6:7], v[152:153], v[6:7]
	v_mov_b32_e32 v115, v117
	v_mov_b32_e32 v3, v5
	ds_write2_b64 v101, v[0:1], v[6:7] offset0:12 offset1:14
	v_pk_add_f32 v[0:1], v[106:107], v[114:115]
	v_mov_b32_e32 v121, v123
	v_pk_add_f32 v[2:3], v[106:107], v[2:3]
	v_mov_b32_e32 v9, v11
	;; [unrolled: 2-line block ×8, first 2 shown]
	v_pk_add_f32 v[0:1], v[132:133], v[0:1]
	v_pk_add_f32 v[2:3], v[74:75], v[2:3]
	v_mov_b32_e32 v55, v73
	ds_write2_b64 v101, v[0:1], v[2:3] offset0:16 offset1:18
	v_pk_add_f32 v[0:1], v[106:107], v[54:55]
	v_mov_b32_e32 v77, v79
	v_pk_add_f32 v[0:1], v[76:77], v[0:1]
	v_mov_b32_e32 v81, v83
	;; [unrolled: 2-line block ×3, first 2 shown]
	v_mov_b32_e32 v42, v52
	v_pk_add_f32 v[0:1], v[102:103], v[0:1]
	v_mov_b32_e32 v111, v113
	v_pk_add_f32 v[20:21], v[42:43], v[20:21]
	v_pk_add_f32 v[0:1], v[110:111], v[0:1]
	ds_write2_b64 v101, v[136:137], v[20:21] offset0:8 offset1:10
	ds_write_b64 v101, v[0:1] offset:160
.LBB0_9:
	s_or_b64 exec, exec, s[36:37]
	v_add_u32_e32 v7, 0xc00, v151
	s_waitcnt lgkmcnt(0)
	s_barrier
	ds_read2_b64 v[8:11], v151 offset0:154 offset1:231
	v_add_u32_e32 v5, 0x800, v151
	ds_read2_b64 v[12:15], v7 offset0:78 offset1:155
	ds_read2_b64 v[16:19], v5 offset0:52 offset1:129
	v_add_u32_e32 v4, 0x1800, v151
	v_add_u32_e32 v6, 0x1000, v151
	ds_read2_b64 v[20:23], v4 offset0:2 offset1:79
	ds_read2_b64 v[24:27], v4 offset0:156 offset1:233
	;; [unrolled: 1-line block ×3, first 2 shown]
	s_waitcnt lgkmcnt(4)
	v_pk_mul_f32 v[52:53], v[56:57], v[12:13] op_sel:[0,1] op_sel_hi:[1,0]
	v_mov_b32_e32 v42, v57
	v_mov_b32_e32 v52, v53
	v_pk_mul_f32 v[40:41], v[56:57], v[12:13]
	v_pk_mul_f32 v[42:43], v[42:43], v[12:13] op_sel:[0,1] op_sel_hi:[1,0]
	v_pk_fma_f32 v[52:53], v[56:57], v[12:13], v[52:53] op_sel:[0,1,0] op_sel_hi:[1,0,1] neg_lo:[0,0,1] neg_hi:[0,0,1]
	v_mov_b32_e32 v12, v59
	s_waitcnt lgkmcnt(0)
	v_pk_mul_f32 v[56:57], v[12:13], v[28:29] op_sel:[0,1] op_sel_hi:[1,0]
	v_pk_mul_f32 v[12:13], v[58:59], v[28:29] op_sel:[0,1] op_sel_hi:[1,0]
	v_pk_mul_f32 v[54:55], v[58:59], v[28:29]
	v_mov_b32_e32 v12, v13
	v_pk_fma_f32 v[28:29], v[58:59], v[28:29], v[12:13] op_sel:[0,1,0] op_sel_hi:[1,0,1] neg_lo:[0,0,1] neg_hi:[0,0,1]
	v_mov_b32_e32 v12, v69
	v_pk_mul_f32 v[72:73], v[12:13], v[14:15] op_sel:[0,1] op_sel_hi:[1,0]
	v_pk_mul_f32 v[12:13], v[68:69], v[14:15] op_sel:[0,1] op_sel_hi:[1,0]
	v_pk_mul_f32 v[58:59], v[68:69], v[14:15]
	v_mov_b32_e32 v12, v13
	v_pk_fma_f32 v[68:69], v[68:69], v[14:15], v[12:13] op_sel:[0,1,0] op_sel_hi:[1,0,1] neg_lo:[0,0,1] neg_hi:[0,0,1]
	v_mov_b32_e32 v12, v71
	v_pk_mul_f32 v[76:77], v[12:13], v[30:31] op_sel:[0,1] op_sel_hi:[1,0]
	v_pk_mul_f32 v[12:13], v[70:71], v[30:31] op_sel:[0,1] op_sel_hi:[1,0]
	v_pk_mul_f32 v[78:79], v[48:49], v[8:9] op_sel_hi:[1,0]
	v_mov_b32_e32 v12, v13
	v_pk_mul_f32 v[74:75], v[70:71], v[30:31]
	v_pk_fma_f32 v[30:31], v[70:71], v[30:31], v[12:13] op_sel:[0,1,0] op_sel_hi:[1,0,1] neg_lo:[0,0,1] neg_hi:[0,0,1]
	v_mov_b32_e32 v70, v9
	v_pk_fma_f32 v[8:9], v[48:49], v[8:9], v[78:79] op_sel:[0,1,1] op_sel_hi:[1,1,0]
	v_pk_fma_f32 v[70:71], v[48:49], v[70:71], v[78:79] op_sel:[0,0,1] op_sel_hi:[1,1,0] neg_lo:[0,0,1] neg_hi:[0,0,1]
	v_mov_b32_e32 v8, v17
	v_pk_mul_f32 v[48:49], v[50:51], v[16:17] op_sel_hi:[1,0]
	v_mov_b32_e32 v71, v9
	v_pk_fma_f32 v[8:9], v[50:51], v[8:9], v[48:49] op_sel:[0,0,1] op_sel_hi:[1,1,0] neg_lo:[0,0,1] neg_hi:[0,0,1]
	v_pk_fma_f32 v[16:17], v[50:51], v[16:17], v[48:49] op_sel:[0,1,1] op_sel_hi:[1,1,0]
	v_pk_mul_f32 v[48:49], v[44:45], v[20:21] op_sel_hi:[1,0]
	v_mov_b32_e32 v16, v21
	v_pk_fma_f32 v[20:21], v[44:45], v[20:21], v[48:49] op_sel:[0,1,1] op_sel_hi:[1,1,0]
	v_mov_b32_e32 v9, v17
	v_pk_fma_f32 v[16:17], v[44:45], v[16:17], v[48:49] op_sel:[0,0,1] op_sel_hi:[1,1,0] neg_lo:[0,0,1] neg_hi:[0,0,1]
	v_mov_b32_e32 v20, v25
	v_pk_mul_f32 v[44:45], v[46:47], v[24:25] op_sel_hi:[1,0]
	v_mov_b32_e32 v17, v21
	v_pk_fma_f32 v[20:21], v[46:47], v[20:21], v[44:45] op_sel:[0,0,1] op_sel_hi:[1,1,0] neg_lo:[0,0,1] neg_hi:[0,0,1]
	v_pk_fma_f32 v[24:25], v[46:47], v[24:25], v[44:45] op_sel:[0,1,1] op_sel_hi:[1,1,0]
	v_mov_b32_e32 v55, v70
	v_mov_b32_e32 v21, v25
	;; [unrolled: 1-line block ×5, first 2 shown]
	v_pk_add_f32 v[24:25], v[70:71], v[20:21]
	v_pk_add_f32 v[44:45], v[70:71], v[20:21] neg_lo:[0,1] neg_hi:[0,1]
	v_pk_add_f32 v[46:47], v[8:9], v[16:17]
	v_pk_add_f32 v[48:49], v[8:9], v[16:17] neg_lo:[0,1] neg_hi:[0,1]
	v_pk_add_f32 v[20:21], v[54:55], v[56:57]
	v_pk_add_f32 v[8:9], v[40:41], v[42:43]
	ds_read2_b64 v[12:15], v151 offset1:77
	v_mov_b32_e32 v29, v20
	v_mov_b32_e32 v53, v8
	v_pk_add_f32 v[16:17], v[28:29], v[52:53] neg_lo:[0,1] neg_hi:[0,1]
	v_mov_b32_e32 v54, v47
	v_mov_b32_e32 v55, v52
	;; [unrolled: 1-line block ×4, first 2 shown]
	v_pk_add_f32 v[28:29], v[54:55], v[52:53]
	v_pk_add_f32 v[52:53], v[8:9], v[20:21]
	v_mov_b32_e32 v40, v16
	v_mov_b32_e32 v41, v45
	;; [unrolled: 1-line block ×4, first 2 shown]
	s_mov_b32 s8, 0x3f08b237
	v_mov_b32_e32 v20, v52
	v_mov_b32_e32 v55, v29
	s_mov_b32 s14, 0x3d64c772
	v_pk_add_f32 v[40:41], v[40:41], v[42:43] neg_lo:[0,1] neg_hi:[0,1]
	s_mov_b32 s9, 0xbeae86e6
	v_mov_b32_e32 v42, v44
	v_mov_b32_e32 v50, v16
	;; [unrolled: 1-line block ×3, first 2 shown]
	v_pk_add_f32 v[54:55], v[20:21], v[54:55] neg_lo:[0,1] neg_hi:[0,1]
	v_mov_b32_e32 v56, v25
	v_mov_b32_e32 v57, v29
	;; [unrolled: 1-line block ×3, first 2 shown]
	v_pk_add_f32 v[28:29], v[28:29], v[52:53]
	s_mov_b32 s15, 0x3f4a47b2
	v_mov_b32_e32 v0, s2
	v_mov_b32_e32 v1, s3
	v_mad_u64_u32 v[2:3], s[0:1], s6, v150, 0
	v_pk_mul_f32 v[40:41], v[40:41], s[8:9]
	v_pk_add_f32 v[42:43], v[42:43], v[50:51] neg_lo:[0,1] neg_hi:[0,1]
	s_mov_b32 s2, s9
	s_mov_b32 s3, s8
	v_pk_add_f32 v[16:17], v[16:17], v[48:49]
	v_pk_add_f32 v[56:57], v[56:57], v[8:9] neg_lo:[0,1] neg_hi:[0,1]
	s_waitcnt lgkmcnt(0)
	v_pk_add_f32 v[12:13], v[12:13], v[28:29]
	s_mov_b32 s12, 0x3f955555
	v_pk_mul_f32 v[52:53], v[54:55], s[14:15]
	s_mov_b32 s16, s15
	s_mov_b32 s17, s14
	v_pk_mul_f32 v[50:51], v[42:43], s[2:3]
	v_pk_add_f32 v[16:17], v[16:17], v[44:45]
	s_mov_b32 s0, 0xbee1c552
	v_pk_mul_f32 v[54:55], v[56:57], s[16:17]
	v_pk_fma_f32 v[28:29], v[28:29], s[12:13], v[12:13] op_sel_hi:[1,0,1] neg_lo:[1,0,0] neg_hi:[1,0,0]
	v_pk_fma_f32 v[56:57], v[56:57], s[16:17], v[52:53]
	v_pk_fma_f32 v[42:43], v[42:43], s[2:3], v[40:41]
	v_pk_add_f32 v[56:57], v[56:57], v[28:29]
	v_pk_fma_f32 v[42:43], v[16:17], s[0:1], v[42:43] op_sel_hi:[1,0,1]
	v_mov_b32_e32 v8, v47
	v_pk_add_f32 v[70:71], v[56:57], v[42:43]
	v_pk_add_f32 v[42:43], v[56:57], v[42:43] neg_lo:[0,1] neg_hi:[0,1]
	v_mov_b32_e32 v56, v70
	v_mov_b32_e32 v57, v43
	;; [unrolled: 1-line block ×3, first 2 shown]
	s_barrier
	ds_write2_b64 v185, v[12:13], v[56:57] offset1:22
	v_pk_add_f32 v[12:13], v[48:49], v[44:45] neg_lo:[0,1] neg_hi:[0,1]
	s_mov_b32 s6, 0xbf5ff5aa
	v_pk_add_f32 v[8:9], v[8:9], v[20:21] neg_lo:[0,1] neg_hi:[0,1]
	s_mov_b32 s10, 0x3f3bfb3b
	v_mov_b32_e32 v20, v54
	v_mov_b32_e32 v21, v53
	;; [unrolled: 1-line block ×6, first 2 shown]
	v_pk_fma_f32 v[20:21], v[8:9], s[10:11], v[20:21] op_sel_hi:[1,0,1] neg_lo:[1,0,1] neg_hi:[1,0,1]
	v_pk_fma_f32 v[24:25], v[12:13], s[6:7], v[24:25] op_sel_hi:[1,0,1] neg_lo:[1,0,1] neg_hi:[1,0,1]
	;; [unrolled: 1-line block ×4, first 2 shown]
	v_pk_add_f32 v[20:21], v[20:21], v[28:29]
	v_pk_fma_f32 v[24:25], v[16:17], s[0:1], v[24:25] op_sel_hi:[1,0,1]
	v_pk_add_f32 v[8:9], v[8:9], v[28:29]
	v_pk_fma_f32 v[12:13], v[16:17], s[0:1], v[12:13] op_sel_hi:[1,0,1]
	v_pk_add_f32 v[44:45], v[20:21], v[24:25]
	v_pk_add_f32 v[20:21], v[20:21], v[24:25] neg_lo:[0,1] neg_hi:[0,1]
	v_pk_add_f32 v[16:17], v[8:9], v[12:13] neg_lo:[0,1] neg_hi:[0,1]
	v_pk_add_f32 v[8:9], v[8:9], v[12:13]
	v_mov_b32_e32 v24, v44
	v_mov_b32_e32 v25, v21
	;; [unrolled: 1-line block ×4, first 2 shown]
	ds_write2_b64 v185, v[24:25], v[12:13] offset0:44 offset1:66
	v_mov_b32_e32 v9, v17
	v_mov_b32_e32 v21, v45
	v_pk_mul_f32 v[12:13], v[36:37], v[10:11] op_sel_hi:[1,0]
	ds_write2_b64 v185, v[8:9], v[20:21] offset0:88 offset1:110
	v_mov_b32_e32 v8, v11
	v_pk_fma_f32 v[10:11], v[36:37], v[10:11], v[12:13] op_sel:[0,1,1] op_sel_hi:[1,1,0]
	v_pk_fma_f32 v[8:9], v[36:37], v[8:9], v[12:13] op_sel:[0,0,1] op_sel_hi:[1,1,0] neg_lo:[0,0,1] neg_hi:[0,0,1]
	v_mov_b32_e32 v10, v19
	v_pk_mul_f32 v[12:13], v[38:39], v[18:19] op_sel_hi:[1,0]
	v_mov_b32_e32 v9, v11
	v_pk_fma_f32 v[10:11], v[38:39], v[10:11], v[12:13] op_sel:[0,0,1] op_sel_hi:[1,1,0] neg_lo:[0,0,1] neg_hi:[0,0,1]
	v_pk_fma_f32 v[12:13], v[38:39], v[18:19], v[12:13] op_sel:[0,1,1] op_sel_hi:[1,1,0]
	v_pk_mul_f32 v[16:17], v[32:33], v[22:23] op_sel_hi:[1,0]
	v_mov_b32_e32 v12, v23
	v_mov_b32_e32 v11, v13
	v_pk_fma_f32 v[12:13], v[32:33], v[12:13], v[16:17] op_sel:[0,0,1] op_sel_hi:[1,1,0] neg_lo:[0,0,1] neg_hi:[0,0,1]
	v_pk_fma_f32 v[16:17], v[32:33], v[22:23], v[16:17] op_sel:[0,1,1] op_sel_hi:[1,1,0]
	v_pk_mul_f32 v[18:19], v[34:35], v[26:27] op_sel_hi:[1,0]
	v_mov_b32_e32 v16, v27
	v_mov_b32_e32 v13, v17
	v_pk_fma_f32 v[16:17], v[34:35], v[16:17], v[18:19] op_sel:[0,0,1] op_sel_hi:[1,1,0] neg_lo:[0,0,1] neg_hi:[0,0,1]
	v_pk_fma_f32 v[18:19], v[34:35], v[26:27], v[18:19] op_sel:[0,1,1] op_sel_hi:[1,1,0]
	v_mov_b32_e32 v75, v8
	v_mov_b32_e32 v17, v19
	;; [unrolled: 1-line block ×5, first 2 shown]
	v_pk_add_f32 v[18:19], v[8:9], v[16:17]
	v_pk_add_f32 v[20:21], v[8:9], v[16:17] neg_lo:[0,1] neg_hi:[0,1]
	v_pk_add_f32 v[22:23], v[10:11], v[12:13]
	v_pk_add_f32 v[24:25], v[10:11], v[12:13] neg_lo:[0,1] neg_hi:[0,1]
	v_pk_add_f32 v[8:9], v[74:75], v[76:77]
	v_pk_add_f32 v[10:11], v[58:59], v[72:73]
	v_mov_b32_e32 v31, v8
	v_mov_b32_e32 v69, v10
	;; [unrolled: 1-line block ×6, first 2 shown]
	v_pk_add_f32 v[12:13], v[30:31], v[68:69] neg_lo:[0,1] neg_hi:[0,1]
	v_pk_add_f32 v[30:31], v[32:33], v[34:35]
	v_pk_add_f32 v[32:33], v[10:11], v[8:9]
	v_mov_b32_e32 v16, v12
	v_mov_b32_e32 v17, v21
	;; [unrolled: 1-line block ×7, first 2 shown]
	v_pk_add_f32 v[16:17], v[16:17], v[26:27] neg_lo:[0,1] neg_hi:[0,1]
	v_mov_b32_e32 v26, v20
	v_mov_b32_e32 v28, v12
	;; [unrolled: 1-line block ×3, first 2 shown]
	v_pk_add_f32 v[34:35], v[8:9], v[34:35] neg_lo:[0,1] neg_hi:[0,1]
	v_mov_b32_e32 v36, v19
	v_mov_b32_e32 v37, v31
	;; [unrolled: 1-line block ×3, first 2 shown]
	v_pk_add_f32 v[30:31], v[30:31], v[32:33]
	v_pk_mul_f32 v[16:17], v[16:17], s[8:9]
	v_pk_add_f32 v[26:27], v[26:27], v[28:29] neg_lo:[0,1] neg_hi:[0,1]
	v_pk_add_f32 v[12:13], v[12:13], v[24:25]
	v_pk_add_f32 v[36:37], v[36:37], v[10:11] neg_lo:[0,1] neg_hi:[0,1]
	v_pk_add_f32 v[14:15], v[14:15], v[30:31]
	v_pk_mul_f32 v[32:33], v[34:35], s[14:15]
	v_pk_mul_f32 v[28:29], v[26:27], s[2:3]
	v_pk_add_f32 v[12:13], v[12:13], v[20:21]
	v_pk_mul_f32 v[34:35], v[36:37], s[16:17]
	v_pk_fma_f32 v[30:31], v[30:31], s[12:13], v[14:15] op_sel_hi:[1,0,1] neg_lo:[1,0,0] neg_hi:[1,0,0]
	v_pk_fma_f32 v[36:37], v[36:37], s[16:17], v[32:33]
	v_pk_fma_f32 v[26:27], v[26:27], s[2:3], v[16:17]
	v_pk_add_f32 v[36:37], v[36:37], v[30:31]
	v_pk_fma_f32 v[26:27], v[12:13], s[0:1], v[26:27] op_sel_hi:[1,0,1]
	v_mov_b32_e32 v43, v71
	v_pk_add_f32 v[38:39], v[36:37], v[26:27]
	v_pk_add_f32 v[26:27], v[36:37], v[26:27] neg_lo:[0,1] neg_hi:[0,1]
	v_mov_b32_e32 v36, v38
	v_mov_b32_e32 v37, v27
	;; [unrolled: 1-line block ×4, first 2 shown]
	ds_write_b64 v185, v[42:43] offset:1056
	ds_write2_b64 v184, v[14:15], v[36:37] offset1:22
	v_pk_add_f32 v[14:15], v[24:25], v[20:21] neg_lo:[0,1] neg_hi:[0,1]
	v_pk_add_f32 v[8:9], v[10:11], v[8:9] neg_lo:[0,1] neg_hi:[0,1]
	v_mov_b32_e32 v10, v34
	v_mov_b32_e32 v11, v33
	;; [unrolled: 1-line block ×6, first 2 shown]
	v_pk_fma_f32 v[10:11], v[8:9], s[10:11], v[10:11] op_sel_hi:[1,0,1] neg_lo:[1,0,1] neg_hi:[1,0,1]
	v_pk_fma_f32 v[18:19], v[14:15], s[6:7], v[18:19] op_sel_hi:[1,0,1] neg_lo:[1,0,1] neg_hi:[1,0,1]
	v_pk_fma_f32 v[8:9], v[8:9], s[10:11], v[32:33] op_sel_hi:[1,0,1] neg_lo:[0,0,1] neg_hi:[0,0,1]
	v_pk_fma_f32 v[14:15], v[14:15], s[6:7], v[16:17] op_sel_hi:[1,0,1] neg_lo:[0,0,1] neg_hi:[0,0,1]
	v_pk_add_f32 v[10:11], v[10:11], v[30:31]
	v_pk_fma_f32 v[18:19], v[12:13], s[0:1], v[18:19] op_sel_hi:[1,0,1]
	v_pk_add_f32 v[8:9], v[8:9], v[30:31]
	v_pk_fma_f32 v[12:13], v[12:13], s[0:1], v[14:15] op_sel_hi:[1,0,1]
	v_pk_add_f32 v[20:21], v[10:11], v[18:19]
	v_pk_add_f32 v[10:11], v[10:11], v[18:19] neg_lo:[0,1] neg_hi:[0,1]
	v_pk_add_f32 v[14:15], v[8:9], v[12:13] neg_lo:[0,1] neg_hi:[0,1]
	v_pk_add_f32 v[8:9], v[8:9], v[12:13]
	v_mov_b32_e32 v18, v20
	v_mov_b32_e32 v19, v11
	;; [unrolled: 1-line block ×7, first 2 shown]
	ds_write2_b64 v184, v[18:19], v[12:13] offset0:44 offset1:66
	ds_write2_b64 v184, v[8:9], v[10:11] offset0:88 offset1:110
	ds_write_b64 v184, v[26:27] offset:1056
	s_waitcnt lgkmcnt(0)
	s_barrier
	ds_read2_b64 v[8:11], v7 offset0:78 offset1:155
	ds_read2_b64 v[12:15], v151 offset0:154 offset1:231
	;; [unrolled: 1-line block ×6, first 2 shown]
	s_waitcnt lgkmcnt(5)
	v_pk_mul_f32 v[36:37], v[92:93], v[8:9] op_sel:[0,1] op_sel_hi:[1,0]
	v_mov_b32_e32 v34, v93
	v_mov_b32_e32 v36, v37
	v_pk_mul_f32 v[32:33], v[92:93], v[8:9]
	v_pk_mul_f32 v[34:35], v[34:35], v[8:9] op_sel:[0,1] op_sel_hi:[1,0]
	v_pk_fma_f32 v[36:37], v[92:93], v[8:9], v[36:37] op_sel:[0,1,0] op_sel_hi:[1,0,1] neg_lo:[0,0,1] neg_hi:[0,0,1]
	v_mov_b32_e32 v8, v95
	s_waitcnt lgkmcnt(4)
	v_pk_mul_f32 v[54:55], v[84:85], v[12:13] op_sel_hi:[1,0]
	s_waitcnt lgkmcnt(0)
	v_pk_mul_f32 v[40:41], v[8:9], v[28:29] op_sel:[0,1] op_sel_hi:[1,0]
	v_pk_mul_f32 v[8:9], v[94:95], v[28:29] op_sel:[0,1] op_sel_hi:[1,0]
	v_mov_b32_e32 v52, v13
	v_pk_fma_f32 v[12:13], v[84:85], v[12:13], v[54:55] op_sel:[0,1,1] op_sel_hi:[1,1,0]
	v_mov_b32_e32 v8, v9
	v_pk_fma_f32 v[52:53], v[84:85], v[52:53], v[54:55] op_sel:[0,0,1] op_sel_hi:[1,1,0] neg_lo:[0,0,1] neg_hi:[0,0,1]
	v_mov_b32_e32 v12, v17
	v_pk_mul_f32 v[54:55], v[86:87], v[16:17] op_sel_hi:[1,0]
	v_pk_mul_f32 v[38:39], v[94:95], v[28:29]
	v_pk_fma_f32 v[28:29], v[94:95], v[28:29], v[8:9] op_sel:[0,1,0] op_sel_hi:[1,0,1] neg_lo:[0,0,1] neg_hi:[0,0,1]
	v_mov_b32_e32 v8, v97
	v_mov_b32_e32 v53, v13
	v_pk_fma_f32 v[12:13], v[86:87], v[12:13], v[54:55] op_sel:[0,0,1] op_sel_hi:[1,1,0] neg_lo:[0,0,1] neg_hi:[0,0,1]
	v_pk_fma_f32 v[16:17], v[86:87], v[16:17], v[54:55] op_sel:[0,1,1] op_sel_hi:[1,1,0]
	v_pk_mul_f32 v[54:55], v[88:89], v[20:21] op_sel_hi:[1,0]
	v_pk_mul_f32 v[44:45], v[8:9], v[10:11] op_sel:[0,1] op_sel_hi:[1,0]
	v_pk_mul_f32 v[8:9], v[96:97], v[10:11] op_sel:[0,1] op_sel_hi:[1,0]
	v_mov_b32_e32 v16, v21
	v_pk_fma_f32 v[20:21], v[88:89], v[20:21], v[54:55] op_sel:[0,1,1] op_sel_hi:[1,1,0]
	v_mov_b32_e32 v8, v9
	v_mov_b32_e32 v13, v17
	v_pk_fma_f32 v[16:17], v[88:89], v[16:17], v[54:55] op_sel:[0,0,1] op_sel_hi:[1,1,0] neg_lo:[0,0,1] neg_hi:[0,0,1]
	v_mov_b32_e32 v20, v25
	v_pk_mul_f32 v[54:55], v[90:91], v[24:25] op_sel_hi:[1,0]
	v_pk_fma_f32 v[46:47], v[96:97], v[10:11], v[8:9] op_sel:[0,1,0] op_sel_hi:[1,0,1] neg_lo:[0,0,1] neg_hi:[0,0,1]
	v_mov_b32_e32 v8, v99
	v_mov_b32_e32 v17, v21
	v_pk_fma_f32 v[20:21], v[90:91], v[20:21], v[54:55] op_sel:[0,0,1] op_sel_hi:[1,1,0] neg_lo:[0,0,1] neg_hi:[0,0,1]
	v_pk_fma_f32 v[24:25], v[90:91], v[24:25], v[54:55] op_sel:[0,1,1] op_sel_hi:[1,1,0]
	v_pk_mul_f32 v[50:51], v[8:9], v[30:31] op_sel:[0,1] op_sel_hi:[1,0]
	v_pk_mul_f32 v[8:9], v[98:99], v[30:31] op_sel:[0,1] op_sel_hi:[1,0]
	v_mov_b32_e32 v21, v25
	v_mov_b32_e32 v39, v52
	;; [unrolled: 1-line block ×6, first 2 shown]
	v_pk_add_f32 v[24:25], v[52:53], v[20:21]
	v_pk_add_f32 v[54:55], v[52:53], v[20:21] neg_lo:[0,1] neg_hi:[0,1]
	v_pk_add_f32 v[56:57], v[12:13], v[16:17]
	v_pk_add_f32 v[58:59], v[12:13], v[16:17] neg_lo:[0,1] neg_hi:[0,1]
	v_pk_add_f32 v[20:21], v[38:39], v[40:41]
	v_pk_add_f32 v[12:13], v[32:33], v[34:35]
	v_pk_mul_f32 v[42:43], v[96:97], v[10:11]
	v_pk_mul_f32 v[48:49], v[98:99], v[30:31]
	v_pk_fma_f32 v[30:31], v[98:99], v[30:31], v[8:9] op_sel:[0,1,0] op_sel_hi:[1,0,1] neg_lo:[0,0,1] neg_hi:[0,0,1]
	ds_read2_b64 v[8:11], v151 offset1:77
	v_mov_b32_e32 v29, v20
	v_mov_b32_e32 v37, v12
	v_pk_add_f32 v[16:17], v[28:29], v[36:37] neg_lo:[0,1] neg_hi:[0,1]
	v_mov_b32_e32 v40, v57
	v_mov_b32_e32 v41, v36
	;; [unrolled: 1-line block ×4, first 2 shown]
	v_pk_add_f32 v[28:29], v[40:41], v[36:37]
	v_pk_add_f32 v[36:37], v[12:13], v[20:21]
	v_mov_b32_e32 v32, v16
	v_mov_b32_e32 v33, v55
	;; [unrolled: 1-line block ×6, first 2 shown]
	v_pk_add_f32 v[32:33], v[32:33], v[34:35] neg_lo:[0,1] neg_hi:[0,1]
	v_mov_b32_e32 v34, v54
	v_mov_b32_e32 v38, v16
	;; [unrolled: 1-line block ×3, first 2 shown]
	v_pk_add_f32 v[40:41], v[20:21], v[40:41] neg_lo:[0,1] neg_hi:[0,1]
	v_mov_b32_e32 v52, v25
	v_mov_b32_e32 v53, v29
	;; [unrolled: 1-line block ×3, first 2 shown]
	v_pk_add_f32 v[28:29], v[28:29], v[36:37]
	v_pk_mul_f32 v[32:33], v[32:33], s[8:9]
	v_pk_add_f32 v[34:35], v[34:35], v[38:39] neg_lo:[0,1] neg_hi:[0,1]
	v_pk_add_f32 v[16:17], v[16:17], v[58:59]
	v_pk_add_f32 v[52:53], v[52:53], v[12:13] neg_lo:[0,1] neg_hi:[0,1]
	s_waitcnt lgkmcnt(0)
	v_pk_add_f32 v[8:9], v[8:9], v[28:29]
	v_pk_mul_f32 v[36:37], v[40:41], s[14:15]
	v_pk_mul_f32 v[38:39], v[34:35], s[2:3]
	v_pk_add_f32 v[16:17], v[16:17], v[54:55]
	v_pk_mul_f32 v[40:41], v[52:53], s[16:17]
	v_pk_fma_f32 v[28:29], v[28:29], s[12:13], v[8:9] op_sel_hi:[1,0,1] neg_lo:[1,0,0] neg_hi:[1,0,0]
	v_pk_fma_f32 v[52:53], v[52:53], s[16:17], v[36:37]
	v_pk_fma_f32 v[34:35], v[34:35], s[2:3], v[32:33]
	v_pk_add_f32 v[52:53], v[52:53], v[28:29]
	v_pk_fma_f32 v[34:35], v[16:17], s[0:1], v[34:35] op_sel_hi:[1,0,1]
	v_mov_b32_e32 v12, v57
	v_mov_b32_e32 v20, v25
	v_pk_add_f32 v[68:69], v[52:53], v[34:35]
	v_pk_add_f32 v[34:35], v[52:53], v[34:35] neg_lo:[0,1] neg_hi:[0,1]
	v_pk_add_f32 v[52:53], v[58:59], v[54:55] neg_lo:[0,1] neg_hi:[0,1]
	;; [unrolled: 1-line block ×3, first 2 shown]
	v_mov_b32_e32 v20, v40
	v_mov_b32_e32 v21, v37
	;; [unrolled: 1-line block ×4, first 2 shown]
	v_pk_fma_f32 v[20:21], v[12:13], s[10:11], v[20:21] op_sel_hi:[1,0,1] neg_lo:[1,0,1] neg_hi:[1,0,1]
	v_pk_fma_f32 v[24:25], v[52:53], s[6:7], v[24:25] op_sel_hi:[1,0,1] neg_lo:[1,0,1] neg_hi:[1,0,1]
	v_pk_add_f32 v[20:21], v[20:21], v[28:29]
	v_pk_fma_f32 v[24:25], v[16:17], s[0:1], v[24:25] op_sel_hi:[1,0,1]
	ds_write_b64 v151, v[8:9]
	v_pk_add_f32 v[54:55], v[20:21], v[24:25]
	v_pk_add_f32 v[20:21], v[20:21], v[24:25] neg_lo:[0,1] neg_hi:[0,1]
	v_mov_b32_e32 v8, v68
	v_mov_b32_e32 v9, v35
	;; [unrolled: 1-line block ×4, first 2 shown]
	v_add_u32_e32 v21, 0x400, v151
	v_mov_b32_e32 v37, v41
	v_mov_b32_e32 v33, v39
	ds_write2_b64 v21, v[8:9], v[24:25] offset0:26 offset1:180
	v_pk_fma_f32 v[8:9], v[12:13], s[10:11], v[36:37] op_sel_hi:[1,0,1] neg_lo:[0,0,1] neg_hi:[0,0,1]
	v_pk_fma_f32 v[12:13], v[52:53], s[6:7], v[32:33] op_sel_hi:[1,0,1] neg_lo:[0,0,1] neg_hi:[0,0,1]
	v_pk_add_f32 v[8:9], v[8:9], v[28:29]
	v_pk_fma_f32 v[12:13], v[16:17], s[0:1], v[12:13] op_sel_hi:[1,0,1]
	v_mov_b32_e32 v21, v55
	v_pk_add_f32 v[16:17], v[8:9], v[12:13] neg_lo:[0,1] neg_hi:[0,1]
	v_pk_add_f32 v[8:9], v[8:9], v[12:13]
	v_mov_b32_e32 v12, v16
	v_mov_b32_e32 v13, v9
	ds_write_b64 v151, v[12:13] offset:3696
	v_mov_b32_e32 v9, v17
	v_add_u32_e32 v12, 0x1200, v186
	ds_write2_b64 v12, v[8:9], v[20:21] offset0:40 offset1:194
	v_mov_b32_e32 v8, v15
	v_pk_mul_f32 v[12:13], v[64:65], v[14:15] op_sel_hi:[1,0]
	v_pk_mul_f32 v[16:17], v[60:61], v[22:23] op_sel_hi:[1,0]
	v_pk_fma_f32 v[8:9], v[64:65], v[8:9], v[12:13] op_sel:[0,0,1] op_sel_hi:[1,1,0] neg_lo:[0,0,1] neg_hi:[0,0,1]
	v_pk_fma_f32 v[12:13], v[64:65], v[14:15], v[12:13] op_sel:[0,1,1] op_sel_hi:[1,1,0]
	v_pk_mul_f32 v[14:15], v[66:67], v[18:19] op_sel_hi:[1,0]
	v_mov_b32_e32 v12, v19
	v_mov_b32_e32 v9, v13
	v_pk_fma_f32 v[12:13], v[66:67], v[12:13], v[14:15] op_sel:[0,0,1] op_sel_hi:[1,1,0] neg_lo:[0,0,1] neg_hi:[0,0,1]
	v_pk_fma_f32 v[14:15], v[66:67], v[18:19], v[14:15] op_sel:[0,1,1] op_sel_hi:[1,1,0]
	v_pk_mul_f32 v[18:19], v[62:63], v[26:27] op_sel_hi:[1,0]
	v_mov_b32_e32 v14, v23
	v_mov_b32_e32 v13, v15
	v_pk_fma_f32 v[14:15], v[60:61], v[14:15], v[16:17] op_sel:[0,0,1] op_sel_hi:[1,1,0] neg_lo:[0,0,1] neg_hi:[0,0,1]
	v_pk_fma_f32 v[16:17], v[60:61], v[22:23], v[16:17] op_sel:[0,1,1] op_sel_hi:[1,1,0]
	v_mov_b32_e32 v49, v8
	v_mov_b32_e32 v16, v27
	;; [unrolled: 1-line block ×3, first 2 shown]
	v_pk_fma_f32 v[16:17], v[62:63], v[16:17], v[18:19] op_sel:[0,0,1] op_sel_hi:[1,1,0] neg_lo:[0,0,1] neg_hi:[0,0,1]
	v_pk_fma_f32 v[18:19], v[62:63], v[26:27], v[18:19] op_sel:[0,1,1] op_sel_hi:[1,1,0]
	v_mov_b32_e32 v51, v16
	v_mov_b32_e32 v17, v19
	;; [unrolled: 1-line block ×4, first 2 shown]
	v_pk_add_f32 v[18:19], v[8:9], v[16:17]
	v_pk_add_f32 v[20:21], v[8:9], v[16:17] neg_lo:[0,1] neg_hi:[0,1]
	v_pk_add_f32 v[22:23], v[12:13], v[14:15]
	v_pk_add_f32 v[24:25], v[12:13], v[14:15] neg_lo:[0,1] neg_hi:[0,1]
	v_pk_add_f32 v[8:9], v[48:49], v[50:51]
	v_pk_add_f32 v[12:13], v[42:43], v[44:45]
	v_mov_b32_e32 v35, v69
	v_mov_b32_e32 v31, v8
	;; [unrolled: 1-line block ×3, first 2 shown]
	ds_write_b64 v186, v[34:35] offset:7392
	v_pk_add_f32 v[14:15], v[30:31], v[46:47] neg_lo:[0,1] neg_hi:[0,1]
	v_mov_b32_e32 v32, v23
	v_mov_b32_e32 v33, v46
	v_mov_b32_e32 v34, v19
	v_mov_b32_e32 v35, v30
	v_mov_b32_e32 v16, v14
	v_mov_b32_e32 v17, v21
	v_mov_b32_e32 v26, v24
	v_mov_b32_e32 v27, v15
	v_pk_add_f32 v[30:31], v[32:33], v[34:35]
	v_pk_add_f32 v[32:33], v[12:13], v[8:9]
	v_pk_add_f32 v[16:17], v[16:17], v[26:27] neg_lo:[0,1] neg_hi:[0,1]
	v_mov_b32_e32 v26, v20
	v_mov_b32_e32 v28, v14
	;; [unrolled: 1-line block ×9, first 2 shown]
	v_pk_add_f32 v[26:27], v[26:27], v[28:29] neg_lo:[0,1] neg_hi:[0,1]
	v_pk_add_f32 v[34:35], v[8:9], v[34:35] neg_lo:[0,1] neg_hi:[0,1]
	;; [unrolled: 1-line block ×3, first 2 shown]
	v_pk_mul_f32 v[16:17], v[16:17], s[8:9]
	v_pk_mul_f32 v[28:29], v[26:27], s[2:3]
	v_pk_add_f32 v[14:15], v[14:15], v[24:25]
	v_pk_add_f32 v[30:31], v[30:31], v[32:33]
	v_pk_mul_f32 v[32:33], v[34:35], s[14:15]
	v_pk_mul_f32 v[34:35], v[36:37], s[16:17]
	v_mov_b32_e32 v12, v23
	v_mov_b32_e32 v8, v19
	v_pk_add_f32 v[14:15], v[14:15], v[20:21]
	v_pk_add_f32 v[10:11], v[10:11], v[30:31]
	v_pk_add_f32 v[20:21], v[24:25], v[20:21] neg_lo:[0,1] neg_hi:[0,1]
	v_pk_add_f32 v[8:9], v[12:13], v[8:9] neg_lo:[0,1] neg_hi:[0,1]
	v_mov_b32_e32 v12, v34
	v_mov_b32_e32 v13, v33
	;; [unrolled: 1-line block ×4, first 2 shown]
	v_pk_fma_f32 v[30:31], v[30:31], s[12:13], v[10:11] op_sel_hi:[1,0,1] neg_lo:[1,0,0] neg_hi:[1,0,0]
	v_pk_fma_f32 v[36:37], v[36:37], s[16:17], v[32:33]
	v_pk_fma_f32 v[26:27], v[26:27], s[2:3], v[16:17]
	v_pk_fma_f32 v[12:13], v[8:9], s[10:11], v[12:13] op_sel_hi:[1,0,1] neg_lo:[1,0,1] neg_hi:[1,0,1]
	v_pk_fma_f32 v[18:19], v[20:21], s[6:7], v[18:19] op_sel_hi:[1,0,1] neg_lo:[1,0,1] neg_hi:[1,0,1]
	v_pk_add_f32 v[36:37], v[36:37], v[30:31]
	v_pk_fma_f32 v[26:27], v[14:15], s[0:1], v[26:27] op_sel_hi:[1,0,1]
	v_pk_add_f32 v[12:13], v[12:13], v[30:31]
	v_pk_fma_f32 v[18:19], v[14:15], s[0:1], v[18:19] op_sel_hi:[1,0,1]
	v_pk_add_f32 v[38:39], v[36:37], v[26:27]
	v_pk_add_f32 v[26:27], v[36:37], v[26:27] neg_lo:[0,1] neg_hi:[0,1]
	v_pk_add_f32 v[22:23], v[12:13], v[18:19]
	v_pk_add_f32 v[12:13], v[12:13], v[18:19] neg_lo:[0,1] neg_hi:[0,1]
	ds_write_b64 v151, v[10:11] offset:616
	v_mov_b32_e32 v10, v38
	v_mov_b32_e32 v11, v27
	;; [unrolled: 1-line block ×4, first 2 shown]
	v_add_u32_e32 v13, 0x400, v100
	v_mov_b32_e32 v33, v35
	v_mov_b32_e32 v17, v29
	ds_write2_b64 v13, v[10:11], v[18:19] offset0:26 offset1:180
	v_pk_fma_f32 v[8:9], v[8:9], s[10:11], v[32:33] op_sel_hi:[1,0,1] neg_lo:[0,0,1] neg_hi:[0,0,1]
	v_pk_fma_f32 v[10:11], v[20:21], s[6:7], v[16:17] op_sel_hi:[1,0,1] neg_lo:[0,0,1] neg_hi:[0,0,1]
	v_pk_add_f32 v[8:9], v[8:9], v[30:31]
	v_pk_fma_f32 v[10:11], v[14:15], s[0:1], v[10:11] op_sel_hi:[1,0,1]
	v_add_u32_e32 v13, 0xc00, v100
	v_pk_add_f32 v[14:15], v[8:9], v[10:11] neg_lo:[0,1] neg_hi:[0,1]
	v_pk_add_f32 v[8:9], v[8:9], v[10:11]
	v_mov_b32_e32 v10, v14
	v_mov_b32_e32 v11, v9
	;; [unrolled: 1-line block ×3, first 2 shown]
	ds_write2_b64 v13, v[10:11], v[8:9] offset0:78 offset1:232
	v_mov_b32_e32 v13, v23
	v_mov_b32_e32 v27, v39
	v_add_u32_e32 v8, 0x1800, v100
	ds_write2_b64 v8, v[12:13], v[26:27] offset0:2 offset1:156
	s_waitcnt lgkmcnt(0)
	s_barrier
	ds_read2_b64 v[8:11], v151 offset1:77
	v_mov_b32_e32 v12, v3
	v_accvgpr_read_b32 v14, a26
	v_mad_u64_u32 v[12:13], s[0:1], s7, v150, v[12:13]
	v_accvgpr_read_b32 v15, a27
	v_mov_b32_e32 v3, v12
	s_waitcnt lgkmcnt(0)
	v_mul_f32_e32 v12, v15, v9
	v_fmac_f32_e32 v12, v14, v8
	v_mul_f32_e32 v8, v15, v8
	s_mov_b32 s0, 0xdbe74d6b
	v_fma_f32 v8, v14, v9, -v8
	s_mov_b32 s1, 0x3f4e65a3
	v_cvt_f64_f32_e32 v[8:9], v8
	v_cvt_f64_f32_e32 v[12:13], v12
	v_mul_f64 v[8:9], v[8:9], s[0:1]
	v_mul_f64 v[12:13], v[12:13], s[0:1]
	v_cvt_f32_f64_e32 v17, v[8:9]
	v_mad_u64_u32 v[8:9], s[2:3], s4, v208, 0
	v_cvt_f32_f64_e32 v16, v[12:13]
	v_mov_b32_e32 v12, v9
	v_mad_u64_u32 v[18:19], s[2:3], s5, v208, v[12:13]
	ds_read2_b64 v[12:15], v7 offset0:78 offset1:155
	v_mov_b32_e32 v9, v18
	v_lshl_add_u64 v[0:1], v[2:3], 3, v[0:1]
	v_lshl_add_u64 v[0:1], v[8:9], 3, v[0:1]
	v_accvgpr_read_b32 v8, a22
	v_accvgpr_read_b32 v9, a23
	s_waitcnt lgkmcnt(0)
	v_mul_f32_e32 v2, v9, v15
	v_fmac_f32_e32 v2, v8, v14
	v_cvt_f64_f32_e32 v[2:3], v2
	v_mul_f64 v[2:3], v[2:3], s[0:1]
	v_cvt_f32_f64_e32 v2, v[2:3]
	v_mul_f32_e32 v3, v9, v14
	global_store_dwordx2 v[0:1], v[16:17], off
	v_fma_f32 v3, v8, v15, -v3
	v_mov_b32_e32 v16, 0x10d8
	v_cvt_f64_f32_e32 v[8:9], v3
	v_mad_u64_u32 v[0:1], s[2:3], s4, v16, v[0:1]
	v_mul_f64 v[8:9], v[8:9], s[0:1]
	s_mul_i32 s2, s5, 0x10d8
	v_accvgpr_read_b32 v14, a24
	v_cvt_f32_f64_e32 v3, v[8:9]
	v_add_u32_e32 v1, s2, v1
	v_accvgpr_read_b32 v15, a25
	global_store_dwordx2 v[0:1], v[2:3], off
	v_mul_f32_e32 v2, v15, v11
	v_fmac_f32_e32 v2, v14, v10
	v_cvt_f64_f32_e32 v[2:3], v2
	v_mul_f64 v[2:3], v[2:3], s[0:1]
	v_cvt_f32_f64_e32 v8, v[2:3]
	v_mul_f32_e32 v2, v15, v10
	v_fma_f32 v2, v14, v11, -v2
	v_cvt_f64_f32_e32 v[2:3], v2
	v_mul_f64 v[2:3], v[2:3], s[0:1]
	v_mov_b32_e32 v17, 0xfffff190
	v_cvt_f32_f64_e32 v9, v[2:3]
	v_mad_u64_u32 v[10:11], s[6:7], s4, v17, v[0:1]
	ds_read2_b64 v[0:3], v6 offset0:104 offset1:181
	s_mul_i32 s3, s5, 0xfffff190
	s_sub_i32 s3, s3, s4
	v_add_u32_e32 v11, s3, v11
	global_store_dwordx2 v[10:11], v[8:9], off
	v_accvgpr_read_b32 v8, a20
	v_accvgpr_read_b32 v9, a21
	s_waitcnt lgkmcnt(0)
	v_mul_f32_e32 v6, v9, v1
	v_fmac_f32_e32 v6, v8, v0
	v_mul_f32_e32 v0, v9, v0
	v_cvt_f64_f32_e32 v[6:7], v6
	v_fma_f32 v0, v8, v1, -v0
	v_mul_f64 v[6:7], v[6:7], s[0:1]
	v_cvt_f64_f32_e32 v[0:1], v0
	v_cvt_f32_f64_e32 v14, v[6:7]
	v_mul_f64 v[0:1], v[0:1], s[0:1]
	ds_read2_b64 v[6:9], v151 offset0:154 offset1:231
	v_cvt_f32_f64_e32 v15, v[0:1]
	v_mad_u64_u32 v[0:1], s[6:7], s4, v16, v[10:11]
	v_add_u32_e32 v1, s2, v1
	global_store_dwordx2 v[0:1], v[14:15], off
	v_accvgpr_read_b32 v14, a18
	v_accvgpr_read_b32 v15, a19
	s_waitcnt lgkmcnt(0)
	v_mul_f32_e32 v10, v15, v7
	v_fmac_f32_e32 v10, v14, v6
	v_mul_f32_e32 v6, v15, v6
	v_fma_f32 v6, v14, v7, -v6
	v_cvt_f64_f32_e32 v[10:11], v10
	v_cvt_f64_f32_e32 v[6:7], v6
	v_mul_f64 v[10:11], v[10:11], s[0:1]
	v_mul_f64 v[6:7], v[6:7], s[0:1]
	v_mad_u64_u32 v[0:1], s[6:7], s4, v17, v[0:1]
	v_cvt_f32_f64_e32 v10, v[10:11]
	v_cvt_f32_f64_e32 v11, v[6:7]
	v_add_u32_e32 v1, s3, v1
	global_store_dwordx2 v[0:1], v[10:11], off
	v_accvgpr_read_b32 v10, a16
	v_accvgpr_read_b32 v11, a17
	v_mul_f32_e32 v6, v11, v3
	v_fmac_f32_e32 v6, v10, v2
	v_mul_f32_e32 v2, v11, v2
	v_fma_f32 v2, v10, v3, -v2
	v_cvt_f64_f32_e32 v[6:7], v6
	v_cvt_f64_f32_e32 v[2:3], v2
	v_mul_f64 v[6:7], v[6:7], s[0:1]
	v_mul_f64 v[2:3], v[2:3], s[0:1]
	v_cvt_f32_f64_e32 v6, v[6:7]
	v_cvt_f32_f64_e32 v7, v[2:3]
	v_accvgpr_read_b32 v2, a14
	v_accvgpr_read_b32 v3, a15
	v_mad_u64_u32 v[10:11], s[6:7], s4, v16, v[0:1]
	v_mul_f32_e32 v0, v3, v9
	v_fmac_f32_e32 v0, v2, v8
	v_cvt_f64_f32_e32 v[0:1], v0
	v_add_u32_e32 v11, s2, v11
	v_mul_f64 v[0:1], v[0:1], s[0:1]
	global_store_dwordx2 v[10:11], v[6:7], off
	v_cvt_f32_f64_e32 v6, v[0:1]
	v_mul_f32_e32 v0, v3, v8
	v_fma_f32 v0, v2, v9, -v0
	v_cvt_f64_f32_e32 v[0:1], v0
	v_mul_f64 v[0:1], v[0:1], s[0:1]
	v_cvt_f32_f64_e32 v7, v[0:1]
	ds_read2_b64 v[0:3], v4 offset0:2 offset1:79
	v_mad_u64_u32 v[10:11], s[6:7], s4, v17, v[10:11]
	v_accvgpr_read_b32 v8, a12
	v_add_u32_e32 v11, s3, v11
	v_accvgpr_read_b32 v9, a13
	global_store_dwordx2 v[10:11], v[6:7], off
	s_waitcnt lgkmcnt(0)
	v_mul_f32_e32 v6, v9, v1
	v_fmac_f32_e32 v6, v8, v0
	v_cvt_f64_f32_e32 v[6:7], v6
	v_mul_f32_e32 v0, v9, v0
	v_mul_f64 v[6:7], v[6:7], s[0:1]
	v_fma_f32 v0, v8, v1, -v0
	v_cvt_f32_f64_e32 v14, v[6:7]
	v_cvt_f64_f32_e32 v[0:1], v0
	ds_read2_b64 v[6:9], v5 offset0:52 offset1:129
	v_mul_f64 v[0:1], v[0:1], s[0:1]
	v_cvt_f32_f64_e32 v15, v[0:1]
	v_mad_u64_u32 v[0:1], s[6:7], s4, v16, v[10:11]
	v_add_u32_e32 v1, s2, v1
	global_store_dwordx2 v[0:1], v[14:15], off
	v_accvgpr_read_b32 v15, a11
	v_accvgpr_read_b32 v14, a10
	s_waitcnt lgkmcnt(0)
	v_mul_f32_e32 v5, v15, v7
	v_fmac_f32_e32 v5, v14, v6
	v_cvt_f64_f32_e32 v[10:11], v5
	v_mul_f32_e32 v5, v15, v6
	v_fma_f32 v5, v14, v7, -v5
	v_cvt_f64_f32_e32 v[6:7], v5
	v_mul_f64 v[10:11], v[10:11], s[0:1]
	v_mul_f64 v[6:7], v[6:7], s[0:1]
	v_mad_u64_u32 v[0:1], s[6:7], s4, v17, v[0:1]
	v_cvt_f32_f64_e32 v10, v[10:11]
	v_cvt_f32_f64_e32 v11, v[6:7]
	v_add_u32_e32 v1, s3, v1
	global_store_dwordx2 v[0:1], v[10:11], off
	v_accvgpr_read_b32 v11, a9
	v_accvgpr_read_b32 v10, a8
	v_mul_f32_e32 v5, v11, v3
	v_fmac_f32_e32 v5, v10, v2
	v_mul_f32_e32 v2, v11, v2
	v_fma_f32 v2, v10, v3, -v2
	v_cvt_f64_f32_e32 v[6:7], v5
	v_cvt_f64_f32_e32 v[2:3], v2
	v_mul_f64 v[6:7], v[6:7], s[0:1]
	v_mul_f64 v[2:3], v[2:3], s[0:1]
	v_cvt_f32_f64_e32 v6, v[6:7]
	v_cvt_f32_f64_e32 v7, v[2:3]
	v_accvgpr_read_b32 v2, a6
	v_accvgpr_read_b32 v3, a7
	v_mad_u64_u32 v[10:11], s[6:7], s4, v16, v[0:1]
	v_mul_f32_e32 v0, v3, v9
	v_fmac_f32_e32 v0, v2, v8
	v_cvt_f64_f32_e32 v[0:1], v0
	v_add_u32_e32 v11, s2, v11
	v_mul_f64 v[0:1], v[0:1], s[0:1]
	global_store_dwordx2 v[10:11], v[6:7], off
	v_cvt_f32_f64_e32 v6, v[0:1]
	v_mul_f32_e32 v0, v3, v8
	v_fma_f32 v0, v2, v9, -v0
	v_cvt_f64_f32_e32 v[0:1], v0
	v_mul_f64 v[0:1], v[0:1], s[0:1]
	v_cvt_f32_f64_e32 v7, v[0:1]
	ds_read2_b64 v[0:3], v4 offset0:156 offset1:233
	v_mad_u64_u32 v[4:5], s[6:7], s4, v17, v[10:11]
	v_add_u32_e32 v5, s3, v5
	v_accvgpr_read_b32 v9, a5
	global_store_dwordx2 v[4:5], v[6:7], off
	v_accvgpr_read_b32 v8, a4
	s_waitcnt lgkmcnt(0)
	v_mul_f32_e32 v6, v9, v1
	v_fmac_f32_e32 v6, v8, v0
	v_mul_f32_e32 v0, v9, v0
	v_fma_f32 v0, v8, v1, -v0
	v_cvt_f64_f32_e32 v[6:7], v6
	v_cvt_f64_f32_e32 v[0:1], v0
	v_mul_f64 v[6:7], v[6:7], s[0:1]
	v_mul_f64 v[0:1], v[0:1], s[0:1]
	v_cvt_f32_f64_e32 v6, v[6:7]
	v_cvt_f32_f64_e32 v7, v[0:1]
	v_mad_u64_u32 v[0:1], s[6:7], s4, v16, v[4:5]
	v_add_u32_e32 v1, s2, v1
	global_store_dwordx2 v[0:1], v[6:7], off
	v_accvgpr_read_b32 v7, a3
	v_accvgpr_read_b32 v6, a2
	v_mul_f32_e32 v4, v7, v13
	v_fmac_f32_e32 v4, v6, v12
	v_cvt_f64_f32_e32 v[4:5], v4
	v_mul_f64 v[4:5], v[4:5], s[0:1]
	v_cvt_f32_f64_e32 v4, v[4:5]
	v_mul_f32_e32 v5, v7, v12
	v_fma_f32 v5, v6, v13, -v5
	v_cvt_f64_f32_e32 v[6:7], v5
	v_mul_f64 v[6:7], v[6:7], s[0:1]
	v_mad_u64_u32 v[0:1], s[6:7], s4, v17, v[0:1]
	v_cvt_f32_f64_e32 v5, v[6:7]
	v_add_u32_e32 v1, s3, v1
	v_accvgpr_read_b32 v7, a1
	global_store_dwordx2 v[0:1], v[4:5], off
	v_accvgpr_read_b32 v6, a0
	v_mul_f32_e32 v4, v7, v3
	v_fmac_f32_e32 v4, v6, v2
	v_mul_f32_e32 v2, v7, v2
	v_fma_f32 v2, v6, v3, -v2
	v_cvt_f64_f32_e32 v[4:5], v4
	v_cvt_f64_f32_e32 v[2:3], v2
	v_mul_f64 v[4:5], v[4:5], s[0:1]
	v_mul_f64 v[2:3], v[2:3], s[0:1]
	v_mad_u64_u32 v[0:1], s[0:1], s4, v16, v[0:1]
	v_cvt_f32_f64_e32 v4, v[4:5]
	v_cvt_f32_f64_e32 v5, v[2:3]
	v_add_u32_e32 v1, s2, v1
	global_store_dwordx2 v[0:1], v[4:5], off
.LBB0_10:
	s_endpgm
	.section	.rodata,"a",@progbits
	.p2align	6, 0x0
	.amdhsa_kernel bluestein_single_back_len1078_dim1_sp_op_CI_CI
		.amdhsa_group_segment_fixed_size 25872
		.amdhsa_private_segment_fixed_size 0
		.amdhsa_kernarg_size 104
		.amdhsa_user_sgpr_count 2
		.amdhsa_user_sgpr_dispatch_ptr 0
		.amdhsa_user_sgpr_queue_ptr 0
		.amdhsa_user_sgpr_kernarg_segment_ptr 1
		.amdhsa_user_sgpr_dispatch_id 0
		.amdhsa_user_sgpr_kernarg_preload_length 0
		.amdhsa_user_sgpr_kernarg_preload_offset 0
		.amdhsa_user_sgpr_private_segment_size 0
		.amdhsa_uses_dynamic_stack 0
		.amdhsa_enable_private_segment 0
		.amdhsa_system_sgpr_workgroup_id_x 1
		.amdhsa_system_sgpr_workgroup_id_y 0
		.amdhsa_system_sgpr_workgroup_id_z 0
		.amdhsa_system_sgpr_workgroup_info 0
		.amdhsa_system_vgpr_workitem_id 0
		.amdhsa_next_free_vgpr 296
		.amdhsa_next_free_sgpr 46
		.amdhsa_accum_offset 256
		.amdhsa_reserve_vcc 1
		.amdhsa_float_round_mode_32 0
		.amdhsa_float_round_mode_16_64 0
		.amdhsa_float_denorm_mode_32 3
		.amdhsa_float_denorm_mode_16_64 3
		.amdhsa_dx10_clamp 1
		.amdhsa_ieee_mode 1
		.amdhsa_fp16_overflow 0
		.amdhsa_tg_split 0
		.amdhsa_exception_fp_ieee_invalid_op 0
		.amdhsa_exception_fp_denorm_src 0
		.amdhsa_exception_fp_ieee_div_zero 0
		.amdhsa_exception_fp_ieee_overflow 0
		.amdhsa_exception_fp_ieee_underflow 0
		.amdhsa_exception_fp_ieee_inexact 0
		.amdhsa_exception_int_div_zero 0
	.end_amdhsa_kernel
	.text
.Lfunc_end0:
	.size	bluestein_single_back_len1078_dim1_sp_op_CI_CI, .Lfunc_end0-bluestein_single_back_len1078_dim1_sp_op_CI_CI
                                        ; -- End function
	.section	.AMDGPU.csdata,"",@progbits
; Kernel info:
; codeLenInByte = 19340
; NumSgprs: 52
; NumVgprs: 256
; NumAgprs: 40
; TotalNumVgprs: 296
; ScratchSize: 0
; MemoryBound: 0
; FloatMode: 240
; IeeeMode: 1
; LDSByteSize: 25872 bytes/workgroup (compile time only)
; SGPRBlocks: 6
; VGPRBlocks: 36
; NumSGPRsForWavesPerEU: 52
; NumVGPRsForWavesPerEU: 296
; AccumOffset: 256
; Occupancy: 1
; WaveLimiterHint : 1
; COMPUTE_PGM_RSRC2:SCRATCH_EN: 0
; COMPUTE_PGM_RSRC2:USER_SGPR: 2
; COMPUTE_PGM_RSRC2:TRAP_HANDLER: 0
; COMPUTE_PGM_RSRC2:TGID_X_EN: 1
; COMPUTE_PGM_RSRC2:TGID_Y_EN: 0
; COMPUTE_PGM_RSRC2:TGID_Z_EN: 0
; COMPUTE_PGM_RSRC2:TIDIG_COMP_CNT: 0
; COMPUTE_PGM_RSRC3_GFX90A:ACCUM_OFFSET: 63
; COMPUTE_PGM_RSRC3_GFX90A:TG_SPLIT: 0
	.text
	.p2alignl 6, 3212836864
	.fill 256, 4, 3212836864
	.type	__hip_cuid_9548aa43eaf86595,@object ; @__hip_cuid_9548aa43eaf86595
	.section	.bss,"aw",@nobits
	.globl	__hip_cuid_9548aa43eaf86595
__hip_cuid_9548aa43eaf86595:
	.byte	0                               ; 0x0
	.size	__hip_cuid_9548aa43eaf86595, 1

	.ident	"AMD clang version 19.0.0git (https://github.com/RadeonOpenCompute/llvm-project roc-6.4.0 25133 c7fe45cf4b819c5991fe208aaa96edf142730f1d)"
	.section	".note.GNU-stack","",@progbits
	.addrsig
	.addrsig_sym __hip_cuid_9548aa43eaf86595
	.amdgpu_metadata
---
amdhsa.kernels:
  - .agpr_count:     40
    .args:
      - .actual_access:  read_only
        .address_space:  global
        .offset:         0
        .size:           8
        .value_kind:     global_buffer
      - .actual_access:  read_only
        .address_space:  global
        .offset:         8
        .size:           8
        .value_kind:     global_buffer
      - .actual_access:  read_only
        .address_space:  global
        .offset:         16
        .size:           8
        .value_kind:     global_buffer
      - .actual_access:  read_only
        .address_space:  global
        .offset:         24
        .size:           8
        .value_kind:     global_buffer
      - .actual_access:  read_only
        .address_space:  global
        .offset:         32
        .size:           8
        .value_kind:     global_buffer
      - .offset:         40
        .size:           8
        .value_kind:     by_value
      - .address_space:  global
        .offset:         48
        .size:           8
        .value_kind:     global_buffer
      - .address_space:  global
        .offset:         56
        .size:           8
        .value_kind:     global_buffer
      - .address_space:  global
        .offset:         64
        .size:           8
        .value_kind:     global_buffer
      - .address_space:  global
        .offset:         72
        .size:           8
        .value_kind:     global_buffer
      - .offset:         80
        .size:           4
        .value_kind:     by_value
      - .address_space:  global
        .offset:         88
        .size:           8
        .value_kind:     global_buffer
      - .address_space:  global
        .offset:         96
        .size:           8
        .value_kind:     global_buffer
    .group_segment_fixed_size: 25872
    .kernarg_segment_align: 8
    .kernarg_segment_size: 104
    .language:       OpenCL C
    .language_version:
      - 2
      - 0
    .max_flat_workgroup_size: 231
    .name:           bluestein_single_back_len1078_dim1_sp_op_CI_CI
    .private_segment_fixed_size: 0
    .sgpr_count:     52
    .sgpr_spill_count: 0
    .symbol:         bluestein_single_back_len1078_dim1_sp_op_CI_CI.kd
    .uniform_work_group_size: 1
    .uses_dynamic_stack: false
    .vgpr_count:     296
    .vgpr_spill_count: 0
    .wavefront_size: 64
amdhsa.target:   amdgcn-amd-amdhsa--gfx950
amdhsa.version:
  - 1
  - 2
...

	.end_amdgpu_metadata
